;; amdgpu-corpus repo=ROCm/rocFFT kind=compiled arch=gfx906 opt=O3
	.text
	.amdgcn_target "amdgcn-amd-amdhsa--gfx906"
	.amdhsa_code_object_version 6
	.protected	fft_rtc_back_len3240_factors_3_3_10_6_6_wgs_108_tpt_108_halfLds_dp_op_CI_CI_unitstride_sbrr_dirReg ; -- Begin function fft_rtc_back_len3240_factors_3_3_10_6_6_wgs_108_tpt_108_halfLds_dp_op_CI_CI_unitstride_sbrr_dirReg
	.globl	fft_rtc_back_len3240_factors_3_3_10_6_6_wgs_108_tpt_108_halfLds_dp_op_CI_CI_unitstride_sbrr_dirReg
	.p2align	8
	.type	fft_rtc_back_len3240_factors_3_3_10_6_6_wgs_108_tpt_108_halfLds_dp_op_CI_CI_unitstride_sbrr_dirReg,@function
fft_rtc_back_len3240_factors_3_3_10_6_6_wgs_108_tpt_108_halfLds_dp_op_CI_CI_unitstride_sbrr_dirReg: ; @fft_rtc_back_len3240_factors_3_3_10_6_6_wgs_108_tpt_108_halfLds_dp_op_CI_CI_unitstride_sbrr_dirReg
; %bb.0:
	s_load_dwordx4 s[8:11], s[4:5], 0x58
	s_load_dwordx4 s[12:15], s[4:5], 0x0
	;; [unrolled: 1-line block ×3, first 2 shown]
	v_mul_u32_u24_e32 v1, 0x25f, v0
	v_add_u32_sdwa v6, s6, v1 dst_sel:DWORD dst_unused:UNUSED_PAD src0_sel:DWORD src1_sel:WORD_1
	v_mov_b32_e32 v1, 0
	s_waitcnt lgkmcnt(0)
	v_cmp_lt_u64_e64 s[0:1], s[14:15], 2
	v_mov_b32_e32 v4, 0
	v_mov_b32_e32 v7, v1
	s_and_b64 vcc, exec, s[0:1]
	v_mov_b32_e32 v5, 0
	s_cbranch_vccnz .LBB0_8
; %bb.1:
	s_load_dwordx2 s[0:1], s[4:5], 0x10
	s_add_u32 s2, s18, 8
	s_addc_u32 s3, s19, 0
	s_add_u32 s6, s16, 8
	v_mov_b32_e32 v4, 0
	s_addc_u32 s7, s17, 0
	v_mov_b32_e32 v5, 0
	s_waitcnt lgkmcnt(0)
	s_add_u32 s20, s0, 8
	v_mov_b32_e32 v165, v5
	s_addc_u32 s21, s1, 0
	s_mov_b64 s[22:23], 1
	v_mov_b32_e32 v164, v4
.LBB0_2:                                ; =>This Inner Loop Header: Depth=1
	s_load_dwordx2 s[24:25], s[20:21], 0x0
                                        ; implicit-def: $vgpr166_vgpr167
	s_waitcnt lgkmcnt(0)
	v_or_b32_e32 v2, s25, v7
	v_cmp_ne_u64_e32 vcc, 0, v[1:2]
	s_and_saveexec_b64 s[0:1], vcc
	s_xor_b64 s[26:27], exec, s[0:1]
	s_cbranch_execz .LBB0_4
; %bb.3:                                ;   in Loop: Header=BB0_2 Depth=1
	v_cvt_f32_u32_e32 v2, s24
	v_cvt_f32_u32_e32 v3, s25
	s_sub_u32 s0, 0, s24
	s_subb_u32 s1, 0, s25
	v_mac_f32_e32 v2, 0x4f800000, v3
	v_rcp_f32_e32 v2, v2
	v_mul_f32_e32 v2, 0x5f7ffffc, v2
	v_mul_f32_e32 v3, 0x2f800000, v2
	v_trunc_f32_e32 v3, v3
	v_mac_f32_e32 v2, 0xcf800000, v3
	v_cvt_u32_f32_e32 v3, v3
	v_cvt_u32_f32_e32 v2, v2
	v_mul_lo_u32 v8, s0, v3
	v_mul_hi_u32 v9, s0, v2
	v_mul_lo_u32 v11, s1, v2
	v_mul_lo_u32 v10, s0, v2
	v_add_u32_e32 v8, v9, v8
	v_add_u32_e32 v8, v8, v11
	v_mul_hi_u32 v9, v2, v10
	v_mul_lo_u32 v11, v2, v8
	v_mul_hi_u32 v13, v2, v8
	v_mul_hi_u32 v12, v3, v10
	v_mul_lo_u32 v10, v3, v10
	v_mul_hi_u32 v14, v3, v8
	v_add_co_u32_e32 v9, vcc, v9, v11
	v_addc_co_u32_e32 v11, vcc, 0, v13, vcc
	v_mul_lo_u32 v8, v3, v8
	v_add_co_u32_e32 v9, vcc, v9, v10
	v_addc_co_u32_e32 v9, vcc, v11, v12, vcc
	v_addc_co_u32_e32 v10, vcc, 0, v14, vcc
	v_add_co_u32_e32 v8, vcc, v9, v8
	v_addc_co_u32_e32 v9, vcc, 0, v10, vcc
	v_add_co_u32_e32 v2, vcc, v2, v8
	v_addc_co_u32_e32 v3, vcc, v3, v9, vcc
	v_mul_lo_u32 v8, s0, v3
	v_mul_hi_u32 v9, s0, v2
	v_mul_lo_u32 v10, s1, v2
	v_mul_lo_u32 v11, s0, v2
	v_add_u32_e32 v8, v9, v8
	v_add_u32_e32 v8, v8, v10
	v_mul_lo_u32 v12, v2, v8
	v_mul_hi_u32 v13, v2, v11
	v_mul_hi_u32 v14, v2, v8
	v_mul_hi_u32 v10, v3, v11
	v_mul_lo_u32 v11, v3, v11
	v_mul_hi_u32 v9, v3, v8
	v_add_co_u32_e32 v12, vcc, v13, v12
	v_addc_co_u32_e32 v13, vcc, 0, v14, vcc
	v_mul_lo_u32 v8, v3, v8
	v_add_co_u32_e32 v11, vcc, v12, v11
	v_addc_co_u32_e32 v10, vcc, v13, v10, vcc
	v_addc_co_u32_e32 v9, vcc, 0, v9, vcc
	v_add_co_u32_e32 v8, vcc, v10, v8
	v_addc_co_u32_e32 v9, vcc, 0, v9, vcc
	v_add_co_u32_e32 v8, vcc, v2, v8
	v_addc_co_u32_e32 v9, vcc, v3, v9, vcc
	v_mad_u64_u32 v[2:3], s[0:1], v6, v9, 0
	v_mul_hi_u32 v10, v6, v8
	v_add_co_u32_e32 v10, vcc, v10, v2
	v_addc_co_u32_e32 v11, vcc, 0, v3, vcc
	v_mad_u64_u32 v[2:3], s[0:1], v7, v8, 0
	v_mad_u64_u32 v[8:9], s[0:1], v7, v9, 0
	v_add_co_u32_e32 v2, vcc, v10, v2
	v_addc_co_u32_e32 v2, vcc, v11, v3, vcc
	v_addc_co_u32_e32 v3, vcc, 0, v9, vcc
	v_add_co_u32_e32 v8, vcc, v2, v8
	v_addc_co_u32_e32 v9, vcc, 0, v3, vcc
	v_mul_lo_u32 v10, s25, v8
	v_mul_lo_u32 v11, s24, v9
	v_mad_u64_u32 v[2:3], s[0:1], s24, v8, 0
	v_add3_u32 v3, v3, v11, v10
	v_sub_u32_e32 v10, v7, v3
	v_mov_b32_e32 v11, s25
	v_sub_co_u32_e32 v2, vcc, v6, v2
	v_subb_co_u32_e64 v10, s[0:1], v10, v11, vcc
	v_subrev_co_u32_e64 v11, s[0:1], s24, v2
	v_subbrev_co_u32_e64 v10, s[0:1], 0, v10, s[0:1]
	v_cmp_le_u32_e64 s[0:1], s25, v10
	v_cndmask_b32_e64 v12, 0, -1, s[0:1]
	v_cmp_le_u32_e64 s[0:1], s24, v11
	v_cndmask_b32_e64 v11, 0, -1, s[0:1]
	v_cmp_eq_u32_e64 s[0:1], s25, v10
	v_cndmask_b32_e64 v10, v12, v11, s[0:1]
	v_add_co_u32_e64 v11, s[0:1], 2, v8
	v_addc_co_u32_e64 v12, s[0:1], 0, v9, s[0:1]
	v_add_co_u32_e64 v13, s[0:1], 1, v8
	v_addc_co_u32_e64 v14, s[0:1], 0, v9, s[0:1]
	v_subb_co_u32_e32 v3, vcc, v7, v3, vcc
	v_cmp_ne_u32_e64 s[0:1], 0, v10
	v_cmp_le_u32_e32 vcc, s25, v3
	v_cndmask_b32_e64 v10, v14, v12, s[0:1]
	v_cndmask_b32_e64 v12, 0, -1, vcc
	v_cmp_le_u32_e32 vcc, s24, v2
	v_cndmask_b32_e64 v2, 0, -1, vcc
	v_cmp_eq_u32_e32 vcc, s25, v3
	v_cndmask_b32_e32 v2, v12, v2, vcc
	v_cmp_ne_u32_e32 vcc, 0, v2
	v_cndmask_b32_e64 v2, v13, v11, s[0:1]
	v_cndmask_b32_e32 v167, v9, v10, vcc
	v_cndmask_b32_e32 v166, v8, v2, vcc
.LBB0_4:                                ;   in Loop: Header=BB0_2 Depth=1
	s_andn2_saveexec_b64 s[0:1], s[26:27]
	s_cbranch_execz .LBB0_6
; %bb.5:                                ;   in Loop: Header=BB0_2 Depth=1
	v_cvt_f32_u32_e32 v2, s24
	s_sub_i32 s26, 0, s24
	v_mov_b32_e32 v167, v1
	v_rcp_iflag_f32_e32 v2, v2
	v_mul_f32_e32 v2, 0x4f7ffffe, v2
	v_cvt_u32_f32_e32 v2, v2
	v_mul_lo_u32 v3, s26, v2
	v_mul_hi_u32 v3, v2, v3
	v_add_u32_e32 v2, v2, v3
	v_mul_hi_u32 v2, v6, v2
	v_mul_lo_u32 v3, v2, s24
	v_add_u32_e32 v8, 1, v2
	v_sub_u32_e32 v3, v6, v3
	v_subrev_u32_e32 v9, s24, v3
	v_cmp_le_u32_e32 vcc, s24, v3
	v_cndmask_b32_e32 v3, v3, v9, vcc
	v_cndmask_b32_e32 v2, v2, v8, vcc
	v_add_u32_e32 v8, 1, v2
	v_cmp_le_u32_e32 vcc, s24, v3
	v_cndmask_b32_e32 v166, v2, v8, vcc
.LBB0_6:                                ;   in Loop: Header=BB0_2 Depth=1
	s_or_b64 exec, exec, s[0:1]
	v_mul_lo_u32 v8, v167, s24
	v_mul_lo_u32 v9, v166, s25
	v_mad_u64_u32 v[2:3], s[0:1], v166, s24, 0
	s_load_dwordx2 s[0:1], s[6:7], 0x0
	s_load_dwordx2 s[24:25], s[2:3], 0x0
	v_add3_u32 v3, v3, v9, v8
	v_sub_co_u32_e32 v2, vcc, v6, v2
	v_subb_co_u32_e32 v3, vcc, v7, v3, vcc
	s_waitcnt lgkmcnt(0)
	v_mul_lo_u32 v6, s0, v3
	v_mul_lo_u32 v7, s1, v2
	v_mad_u64_u32 v[4:5], s[0:1], s0, v2, v[4:5]
	v_mul_lo_u32 v3, s24, v3
	v_mul_lo_u32 v8, s25, v2
	v_mad_u64_u32 v[164:165], s[0:1], s24, v2, v[164:165]
	s_add_u32 s22, s22, 1
	s_addc_u32 s23, s23, 0
	s_add_u32 s2, s2, 8
	v_add3_u32 v165, v8, v165, v3
	s_addc_u32 s3, s3, 0
	v_mov_b32_e32 v2, s14
	s_add_u32 s6, s6, 8
	v_mov_b32_e32 v3, s15
	s_addc_u32 s7, s7, 0
	v_cmp_ge_u64_e32 vcc, s[22:23], v[2:3]
	s_add_u32 s20, s20, 8
	v_add3_u32 v5, v7, v5, v6
	s_addc_u32 s21, s21, 0
	s_cbranch_vccnz .LBB0_9
; %bb.7:                                ;   in Loop: Header=BB0_2 Depth=1
	v_mov_b32_e32 v6, v166
	v_mov_b32_e32 v7, v167
	s_branch .LBB0_2
.LBB0_8:
	v_mov_b32_e32 v165, v5
	v_mov_b32_e32 v167, v7
	;; [unrolled: 1-line block ×4, first 2 shown]
.LBB0_9:
	s_load_dwordx2 s[2:3], s[4:5], 0x28
	s_lshl_b64 s[4:5], s[14:15], 3
	s_add_u32 s6, s18, s4
	s_addc_u32 s7, s19, s5
                                        ; implicit-def: $vgpr168
	s_waitcnt lgkmcnt(0)
	v_cmp_gt_u64_e64 s[0:1], s[2:3], v[166:167]
	v_cmp_le_u64_e32 vcc, s[2:3], v[166:167]
	s_and_saveexec_b64 s[2:3], vcc
	s_xor_b64 s[2:3], exec, s[2:3]
; %bb.10:
	s_mov_b32 s14, 0x25ed098
	v_mul_hi_u32 v1, v0, s14
                                        ; implicit-def: $vgpr4_vgpr5
	v_mul_u32_u24_e32 v1, 0x6c, v1
	v_sub_u32_e32 v168, v0, v1
                                        ; implicit-def: $vgpr0
; %bb.11:
	s_or_saveexec_b64 s[2:3], s[2:3]
                                        ; implicit-def: $vgpr94_vgpr95
                                        ; implicit-def: $vgpr76_vgpr77
                                        ; implicit-def: $vgpr86_vgpr87
                                        ; implicit-def: $vgpr90_vgpr91
                                        ; implicit-def: $vgpr72_vgpr73
                                        ; implicit-def: $vgpr98_vgpr99
                                        ; implicit-def: $vgpr102_vgpr103
                                        ; implicit-def: $vgpr110_vgpr111
                                        ; implicit-def: $vgpr80_vgpr81
                                        ; implicit-def: $vgpr60_vgpr61
                                        ; implicit-def: $vgpr118_vgpr119
                                        ; implicit-def: $vgpr114_vgpr115
                                        ; implicit-def: $vgpr44_vgpr45
                                        ; implicit-def: $vgpr126_vgpr127
                                        ; implicit-def: $vgpr122_vgpr123
                                        ; implicit-def: $vgpr64_vgpr65
                                        ; implicit-def: $vgpr56_vgpr57
                                        ; implicit-def: $vgpr68_vgpr69
                                        ; implicit-def: $vgpr36_vgpr37
                                        ; implicit-def: $vgpr32_vgpr33
                                        ; implicit-def: $vgpr40_vgpr41
                                        ; implicit-def: $vgpr48_vgpr49
                                        ; implicit-def: $vgpr28_vgpr29
                                        ; implicit-def: $vgpr20_vgpr21
                                        ; implicit-def: $vgpr14_vgpr15
                                        ; implicit-def: $vgpr24_vgpr25
                                        ; implicit-def: $vgpr10_vgpr11
                                        ; implicit-def: $vgpr130_vgpr131
                                        ; implicit-def: $vgpr6_vgpr7
                                        ; implicit-def: $vgpr2_vgpr3
	s_xor_b64 exec, exec, s[2:3]
	s_cbranch_execz .LBB0_13
; %bb.12:
	s_add_u32 s4, s16, s4
	s_addc_u32 s5, s17, s5
	s_load_dwordx2 s[4:5], s[4:5], 0x0
	s_mov_b32 s14, 0x25ed098
	v_mul_hi_u32 v3, v0, s14
	s_waitcnt lgkmcnt(0)
	v_mul_lo_u32 v6, s5, v166
	v_mul_lo_u32 v7, s4, v167
	v_mad_u64_u32 v[1:2], s[4:5], s4, v166, 0
	v_mul_u32_u24_e32 v3, 0x6c, v3
	v_sub_u32_e32 v168, v0, v3
	v_add3_u32 v2, v2, v7, v6
	v_lshlrev_b64 v[0:1], 4, v[1:2]
	v_mov_b32_e32 v2, s9
	v_add_co_u32_e32 v3, vcc, s8, v0
	v_addc_co_u32_e32 v2, vcc, v2, v1, vcc
	v_lshlrev_b64 v[0:1], 4, v[4:5]
	s_movk_i32 s4, 0x4000
	v_add_co_u32_e32 v0, vcc, v3, v0
	v_addc_co_u32_e32 v1, vcc, v2, v1, vcc
	v_lshlrev_b32_e32 v2, 4, v168
	v_add_co_u32_e32 v12, vcc, v0, v2
	v_addc_co_u32_e32 v13, vcc, 0, v1, vcc
	v_add_co_u32_e32 v16, vcc, s4, v12
	v_addc_co_u32_e32 v17, vcc, 0, v13, vcc
	s_mov_b32 s4, 0x8000
	v_add_co_u32_e32 v50, vcc, s4, v12
	v_addc_co_u32_e32 v51, vcc, 0, v13, vcc
	s_movk_i32 s4, 0x5000
	v_add_co_u32_e32 v14, vcc, s4, v12
	v_addc_co_u32_e32 v15, vcc, 0, v13, vcc
	s_mov_b32 s4, 0x9000
	v_add_co_u32_e32 v22, vcc, s4, v12
	v_addc_co_u32_e32 v23, vcc, 0, v13, vcc
	s_movk_i32 s4, 0x1000
	v_add_co_u32_e32 v24, vcc, s4, v12
	v_addc_co_u32_e32 v25, vcc, 0, v13, vcc
	s_mov_b32 s4, 0xa000
	global_load_dwordx4 v[0:3], v[12:13], off
	global_load_dwordx4 v[8:11], v[12:13], off offset:1728
	global_load_dwordx4 v[4:7], v[16:17], off offset:896
	;; [unrolled: 1-line block ×9, first 2 shown]
	v_add_co_u32_e32 v14, vcc, s4, v12
	v_addc_co_u32_e32 v15, vcc, 0, v13, vcc
	s_movk_i32 s4, 0x2000
	v_add_co_u32_e32 v52, vcc, s4, v12
	v_addc_co_u32_e32 v53, vcc, 0, v13, vcc
	s_movk_i32 s4, 0x6000
	v_add_co_u32_e32 v82, vcc, s4, v12
	v_addc_co_u32_e32 v83, vcc, 0, v13, vcc
	s_movk_i32 s4, 0x7000
	v_add_co_u32_e32 v84, vcc, s4, v12
	v_addc_co_u32_e32 v85, vcc, 0, v13, vcc
	s_mov_b32 s4, 0xb000
	v_add_co_u32_e32 v92, vcc, s4, v12
	v_addc_co_u32_e32 v93, vcc, 0, v13, vcc
	s_movk_i32 s4, 0x3000
	v_add_co_u32_e32 v94, vcc, s4, v12
	v_addc_co_u32_e32 v95, vcc, 0, v13, vcc
	v_add_co_u32_e32 v104, vcc, 0xc000, v12
	global_load_dwordx4 v[66:69], v[24:25], off offset:2816
	global_load_dwordx4 v[62:65], v[14:15], off offset:512
	;; [unrolled: 1-line block ×4, first 2 shown]
	v_addc_co_u32_e32 v105, vcc, 0, v13, vcc
	global_load_dwordx4 v[120:123], v[52:53], off offset:448
	global_load_dwordx4 v[112:115], v[52:53], off offset:2176
	;; [unrolled: 1-line block ×12, first 2 shown]
                                        ; kill: killed $vgpr84 killed $vgpr85
                                        ; kill: killed $vgpr50 killed $vgpr51
                                        ; kill: killed $vgpr82 killed $vgpr83
                                        ; kill: killed $vgpr16 killed $vgpr17
                                        ; kill: killed $vgpr52 killed $vgpr53
	global_load_dwordx4 v[88:91], v[92:93], off offset:3328
	global_load_dwordx4 v[96:99], v[94:95], off offset:1536
	;; [unrolled: 1-line block ×3, first 2 shown]
                                        ; kill: killed $vgpr94 killed $vgpr95
                                        ; kill: killed $vgpr92 killed $vgpr93
	s_nop 0
	global_load_dwordx4 v[92:95], v[104:105], off offset:960
.LBB0_13:
	s_or_b64 exec, exec, s[2:3]
	s_waitcnt vmcnt(5)
	v_add_f64 v[82:83], v[12:13], v[22:23]
	v_add_f64 v[16:17], v[128:129], v[4:5]
	;; [unrolled: 1-line block ×5, first 2 shown]
	v_add_f64 v[24:25], v[24:25], -v[14:15]
	v_add_f64 v[184:185], v[22:23], -v[12:13]
	v_add_f64 v[22:23], v[46:47], v[26:27]
	v_fma_f64 v[8:9], v[82:83], -0.5, v[8:9]
	v_add_f64 v[106:107], v[4:5], v[0:1]
	v_add_f64 v[132:133], v[6:7], -v[130:131]
	v_fma_f64 v[0:1], v[16:17], -0.5, v[0:1]
	v_add_f64 v[136:137], v[34:35], v[30:31]
	s_mov_b32 s2, 0xe8584caa
	s_mov_b32 s3, 0xbfebb67a
	v_add_f64 v[16:17], v[26:27], v[18:19]
	v_add_f64 v[12:13], v[12:13], v[50:51]
	;; [unrolled: 1-line block ×3, first 2 shown]
	v_fma_f64 v[188:189], v[104:105], -0.5, v[10:11]
	v_fma_f64 v[10:11], v[22:23], -0.5, v[18:19]
	v_add_f64 v[14:15], v[28:29], -v[48:49]
	v_fma_f64 v[82:83], v[24:25], s[2:3], v[8:9]
	v_add_f64 v[106:107], v[128:129], v[106:107]
	v_fma_f64 v[134:135], v[132:133], s[2:3], v[0:1]
	v_add_f64 v[18:19], v[30:31], v[38:39]
	v_fma_f64 v[22:23], v[136:137], -0.5, v[38:39]
	v_add_f64 v[38:39], v[32:33], -v[36:37]
	v_mad_u32_u24 v190, v168, 24, 0
	v_add_u32_e32 v191, 0xa20, v190
	v_add_f64 v[138:139], v[62:63], v[54:55]
	v_add_f64 v[16:17], v[46:47], v[16:17]
	v_fma_f64 v[104:105], v[14:15], s[2:3], v[10:11]
	ds_write2_b64 v191, v[12:13], v[82:83] offset1:1
	v_add_f64 v[12:13], v[42:43], v[124:125]
	ds_write2_b64 v190, v[106:107], v[134:135] offset1:1
	v_add_f64 v[18:19], v[34:35], v[18:19]
	v_fma_f64 v[106:107], v[38:39], s[2:3], v[22:23]
	v_add_u32_e32 v192, 0x1440, v190
	v_add_f64 v[50:51], v[54:55], v[66:67]
	v_fma_f64 v[52:53], v[138:139], -0.5, v[66:67]
	v_add_f64 v[66:67], v[56:57], -v[64:65]
	ds_write2_b64 v192, v[16:17], v[104:105] offset1:1
	v_fma_f64 v[12:13], v[12:13], -0.5, v[120:121]
	v_add_f64 v[16:17], v[126:127], -v[44:45]
	v_add_u32_e32 v193, 0x1e60, v190
	s_mov_b32 s5, 0x3febb67a
	s_mov_b32 s4, s2
	ds_write2_b64 v193, v[18:19], v[106:107] offset1:1
	v_fma_f64 v[0:1], v[132:133], s[4:5], v[0:1]
	v_add_f64 v[18:19], v[124:125], v[120:121]
	v_add_f64 v[50:51], v[62:63], v[50:51]
	v_fma_f64 v[134:135], v[66:67], s[2:3], v[52:53]
	v_fma_f64 v[8:9], v[24:25], s[4:5], v[8:9]
	;; [unrolled: 1-line block ×3, first 2 shown]
	v_add_f64 v[14:15], v[58:59], v[116:117]
	v_fma_f64 v[22:23], v[38:39], s[4:5], v[22:23]
	v_fma_f64 v[38:39], v[16:17], s[2:3], v[12:13]
	;; [unrolled: 1-line block ×3, first 2 shown]
	v_add_f64 v[16:17], v[116:117], v[112:113]
	v_fma_f64 v[24:25], v[66:67], s[4:5], v[52:53]
	ds_write_b64 v190, v[0:1] offset:16
	v_add_f64 v[0:1], v[42:43], v[18:19]
	v_add_u32_e32 v194, 0x2880, v190
	ds_write2_b64 v194, v[50:51], v[134:135] offset1:1
	v_fma_f64 v[14:15], v[14:15], -0.5, v[112:113]
	v_add_f64 v[18:19], v[118:119], -v[60:61]
	ds_write_b64 v190, v[8:9] offset:2608
	ds_write_b64 v190, v[10:11] offset:5200
	;; [unrolled: 1-line block ×5, first 2 shown]
	v_add_f64 v[0:1], v[58:59], v[16:17]
	v_add_u32_e32 v112, 0x32a8, v190
	ds_write2_b64 v112, v[38:39], v[12:13] offset1:1
	v_add_f64 v[12:13], v[108:109], v[78:79]
	s_waitcnt vmcnt(3)
	v_add_f64 v[16:17], v[88:89], v[70:71]
	v_add_u32_e32 v113, 0x3cc8, v190
	v_fma_f64 v[8:9], v[18:19], s[2:3], v[14:15]
	v_fma_f64 v[10:11], v[18:19], s[4:5], v[14:15]
	v_add_f64 v[14:15], v[100:101], v[108:109]
	ds_write_b64 v190, v[0:1] offset:15552
	s_waitcnt vmcnt(0)
	v_add_f64 v[0:1], v[92:93], v[74:75]
	v_add_f64 v[12:13], v[100:101], v[12:13]
	v_add_f64 v[18:19], v[72:73], -v[90:91]
	v_add_f64 v[24:25], v[76:77], -v[94:95]
	v_add_f64 v[22:23], v[74:75], v[84:85]
	ds_write2_b64 v113, v[8:9], v[10:11] offset1:1
	v_fma_f64 v[8:9], v[14:15], -0.5, v[78:79]
	v_add_f64 v[10:11], v[110:111], -v[102:103]
	v_fma_f64 v[14:15], v[16:17], -0.5, v[96:97]
	v_fma_f64 v[0:1], v[0:1], -0.5, v[84:85]
	v_add_f64 v[16:17], v[70:71], v[96:97]
	ds_write_b64 v190, v[12:13] offset:18144
	v_add_u32_e32 v78, 0x46e8, v190
	v_add_u32_e32 v79, 0x5108, v190
	;; [unrolled: 1-line block ×3, first 2 shown]
	v_fma_f64 v[38:39], v[10:11], s[2:3], v[8:9]
	v_fma_f64 v[8:9], v[10:11], s[4:5], v[8:9]
	;; [unrolled: 1-line block ×6, first 2 shown]
	v_add_f64 v[10:11], v[88:89], v[16:17]
	v_add_f64 v[16:17], v[92:93], v[22:23]
	ds_write2_b64 v78, v[38:39], v[8:9] offset1:1
	ds_write_b64 v190, v[10:11] offset:20736
	ds_write2_b64 v79, v[12:13], v[14:15] offset1:1
	ds_write_b64 v190, v[16:17] offset:23328
	ds_write2_b64 v96, v[18:19], v[0:1] offset1:1
	v_add_f64 v[0:1], v[48:49], v[28:29]
	v_add_f64 v[38:39], v[36:37], v[32:33]
	v_add_f64 v[66:67], v[64:65], v[56:57]
	v_add_f64 v[26:27], v[26:27], -v[46:47]
	v_add_f64 v[32:33], v[32:33], v[40:41]
	v_add_f64 v[30:31], v[30:31], -v[34:35]
	v_fma_f64 v[46:47], v[184:185], s[4:5], v[188:189]
	v_lshl_add_u32 v169, v168, 3, 0
	v_fma_f64 v[0:1], v[0:1], -0.5, v[20:21]
	v_add_f64 v[20:21], v[28:29], v[20:21]
	v_fma_f64 v[28:29], v[38:39], -0.5, v[40:41]
	v_fma_f64 v[34:35], v[66:67], -0.5, v[68:69]
	v_add_f64 v[38:39], v[56:57], v[68:69]
	v_add_f64 v[40:41], v[54:55], -v[62:63]
	v_add_f64 v[32:33], v[36:37], v[32:33]
	v_add_u32_e32 v174, 0x3400, v169
	v_add_u32_e32 v181, 0x1800, v169
	v_add_f64 v[20:21], v[48:49], v[20:21]
	v_fma_f64 v[48:49], v[26:27], s[4:5], v[0:1]
	v_fma_f64 v[36:37], v[30:31], s[4:5], v[28:29]
	v_add_u32_e32 v183, 0x5c00, v169
	s_load_dwordx2 s[6:7], s[6:7], 0x0
	s_waitcnt lgkmcnt(0)
	s_barrier
	v_add_u32_e32 v171, 0x2000, v169
	v_add_u32_e32 v170, 0x4000, v169
	;; [unrolled: 1-line block ×11, first 2 shown]
	ds_read2_b64 v[50:53], v169 offset1:108
	ds_read2_b64 v[160:163], v171 offset0:56 offset1:164
	ds_read2_b64 v[156:159], v170 offset0:112 offset1:220
	ds_read2_b64 v[22:25], v175 offset0:88 offset1:196
	ds_read2_b64 v[152:155], v176 offset0:16 offset1:124
	ds_read2_b64 v[148:151], v177 offset0:72 offset1:180
	ds_read2_b64 v[16:19], v178 offset0:48 offset1:156
	ds_read2_b64 v[136:139], v179 offset0:104 offset1:212
	ds_read2_b64 v[132:135], v180 offset0:32 offset1:140
	ds_read2_b64 v[12:15], v173 offset0:136 offset1:244
	ds_read2_b64 v[144:147], v174 offset0:64 offset1:172
	ds_read2_b64 v[140:143], v172 offset0:120 offset1:228
	ds_read2_b64 v[8:11], v181 offset0:96 offset1:204
	ds_read2_b64 v[82:85], v182 offset0:24 offset1:132
	ds_read2_b64 v[104:107], v183 offset0:80 offset1:188
	s_waitcnt lgkmcnt(0)
	v_add_f64 v[38:39], v[64:65], v[38:39]
	v_fma_f64 v[54:55], v[40:41], s[4:5], v[34:35]
	s_barrier
	ds_write2_b64 v191, v[186:187], v[46:47] offset1:1
	v_add_f64 v[46:47], v[6:7], v[2:3]
	ds_write2_b64 v192, v[20:21], v[48:49] offset1:1
	ds_write2_b64 v193, v[32:33], v[36:37] offset1:1
	v_add_f64 v[6:7], v[130:131], v[6:7]
	v_add_f64 v[20:21], v[126:127], v[122:123]
	;; [unrolled: 1-line block ×3, first 2 shown]
	ds_write2_b64 v194, v[38:39], v[54:55] offset1:1
	v_add_f64 v[4:5], v[4:5], -v[128:129]
	v_add_f64 v[38:39], v[118:119], v[114:115]
	v_add_f64 v[36:37], v[130:131], v[46:47]
	;; [unrolled: 1-line block ×3, first 2 shown]
	v_fma_f64 v[2:3], v[6:7], -0.5, v[2:3]
	v_add_f64 v[20:21], v[44:45], v[20:21]
	v_add_f64 v[44:45], v[116:117], -v[58:59]
	v_add_f64 v[48:49], v[102:103], v[110:111]
	v_add_f64 v[58:59], v[90:91], v[72:73]
	;; [unrolled: 1-line block ×3, first 2 shown]
	v_add_f64 v[6:7], v[124:125], -v[42:43]
	v_fma_f64 v[32:33], v[32:33], -0.5, v[122:123]
	v_add_f64 v[42:43], v[110:111], v[80:81]
	v_add_f64 v[38:39], v[60:61], v[38:39]
	v_fma_f64 v[46:47], v[46:47], -0.5, v[114:115]
	v_add_f64 v[54:55], v[108:109], -v[100:101]
	v_add_f64 v[56:57], v[72:73], v[98:99]
	v_add_f64 v[60:61], v[76:77], v[86:87]
	v_fma_f64 v[64:65], v[4:5], s[4:5], v[2:3]
	v_fma_f64 v[48:49], v[48:49], -0.5, v[80:81]
	v_add_f64 v[66:67], v[70:71], -v[88:89]
	v_fma_f64 v[58:59], v[58:59], -0.5, v[98:99]
	v_add_f64 v[68:69], v[74:75], -v[92:93]
	v_fma_f64 v[62:63], v[62:63], -0.5, v[86:87]
	v_fma_f64 v[2:3], v[4:5], s[2:3], v[2:3]
	v_fma_f64 v[4:5], v[184:185], s[2:3], v[188:189]
	;; [unrolled: 1-line block ×7, first 2 shown]
	s_movk_i32 s8, 0xab
	v_add_f64 v[42:43], v[102:103], v[42:43]
	v_add_f64 v[56:57], v[90:91], v[56:57]
	;; [unrolled: 1-line block ×3, first 2 shown]
	ds_write2_b64 v190, v[36:37], v[64:65] offset1:1
	v_fma_f64 v[32:33], v[44:45], s[4:5], v[46:47]
	v_fma_f64 v[34:35], v[44:45], s[2:3], v[46:47]
	;; [unrolled: 1-line block ×8, first 2 shown]
	ds_write_b64 v190, v[2:3] offset:16
	ds_write_b64 v190, v[4:5] offset:2608
	ds_write_b64 v190, v[0:1] offset:5200
	ds_write_b64 v190, v[26:27] offset:7792
	ds_write_b64 v190, v[28:29] offset:10384
	ds_write_b64 v190, v[20:21] offset:12960
	ds_write2_b64 v112, v[30:31], v[6:7] offset1:1
	ds_write_b64 v190, v[38:39] offset:15552
	ds_write2_b64 v113, v[32:33], v[34:35] offset1:1
	ds_write_b64 v190, v[42:43] offset:18144
	;; [unrolled: 2-line block ×4, first 2 shown]
	ds_write2_b64 v96, v[48:49], v[54:55] offset1:1
	v_mul_lo_u16_sdwa v0, v168, s8 dst_sel:DWORD dst_unused:UNUSED_PAD src0_sel:BYTE_0 src1_sel:DWORD
	v_lshrrev_b16_e32 v2, 9, v0
	v_mul_lo_u16_e32 v0, 3, v2
	v_add_u16_e32 v188, 0x6c, v168
	v_sub_u16_e32 v3, v168, v0
	v_mul_lo_u16_sdwa v0, v188, s8 dst_sel:DWORD dst_unused:UNUSED_PAD src0_sel:BYTE_0 src1_sel:DWORD
	v_mov_b32_e32 v186, 5
	v_lshrrev_b16_e32 v0, 9, v0
	v_lshlrev_b32_sdwa v4, v186, v3 dst_sel:DWORD dst_unused:UNUSED_PAD src0_sel:DWORD src1_sel:BYTE_0
	v_mul_lo_u16_e32 v1, 3, v0
	s_waitcnt lgkmcnt(0)
	s_barrier
	global_load_dwordx4 v[40:43], v4, s[12:13]
	v_sub_u16_e32 v1, v188, v1
	v_lshlrev_b32_sdwa v5, v186, v1 dst_sel:DWORD dst_unused:UNUSED_PAD src0_sel:DWORD src1_sel:BYTE_0
	global_load_dwordx4 v[44:47], v5, s[12:13]
	global_load_dwordx4 v[54:57], v4, s[12:13] offset:16
	global_load_dwordx4 v[58:61], v5, s[12:13] offset:16
	v_add_u32_e32 v187, 0xd8, v168
	s_mov_b32 s8, 0xaaab
	v_mul_u32_u24_sdwa v4, v187, s8 dst_sel:DWORD dst_unused:UNUSED_PAD src0_sel:WORD_0 src1_sel:DWORD
	v_lshrrev_b32_e32 v6, 17, v4
	v_mul_lo_u16_e32 v4, 3, v6
	v_add_u32_e32 v185, 0x144, v168
	v_sub_u16_e32 v7, v187, v4
	v_mul_u32_u24_sdwa v4, v185, s8 dst_sel:DWORD dst_unused:UNUSED_PAD src0_sel:WORD_0 src1_sel:DWORD
	v_lshrrev_b32_e32 v4, 17, v4
	v_mul_lo_u16_e32 v5, 3, v4
	v_lshlrev_b32_e32 v20, 5, v7
	v_sub_u16_e32 v5, v185, v5
	global_load_dwordx4 v[62:65], v20, s[12:13]
	v_lshlrev_b32_e32 v21, 5, v5
	global_load_dwordx4 v[66:69], v20, s[12:13] offset:16
	global_load_dwordx4 v[70:73], v21, s[12:13]
	global_load_dwordx4 v[74:77], v21, s[12:13] offset:16
	v_add_u32_e32 v184, 0x1b0, v168
	v_add_u32_e32 v21, 0x21c, v168
	v_mul_u32_u24_sdwa v20, v184, s8 dst_sel:DWORD dst_unused:UNUSED_PAD src0_sel:WORD_0 src1_sel:DWORD
	v_mul_u32_u24_sdwa v26, v21, s8 dst_sel:DWORD dst_unused:UNUSED_PAD src0_sel:WORD_0 src1_sel:DWORD
	v_lshrrev_b32_e32 v30, 17, v20
	v_lshrrev_b32_e32 v26, 17, v26
	v_mul_lo_u16_e32 v20, 3, v30
	v_mul_lo_u16_e32 v27, 3, v26
	v_sub_u16_e32 v31, v184, v20
	v_sub_u16_e32 v27, v21, v27
	v_lshlrev_b32_e32 v20, 5, v31
	v_lshlrev_b32_e32 v21, 5, v27
	global_load_dwordx4 v[108:111], v20, s[12:13]
	global_load_dwordx4 v[112:115], v21, s[12:13]
	global_load_dwordx4 v[116:119], v20, s[12:13] offset:16
	global_load_dwordx4 v[120:123], v21, s[12:13] offset:16
	v_add_u32_e32 v20, 0x288, v168
	v_mul_u32_u24_sdwa v21, v20, s8 dst_sel:DWORD dst_unused:UNUSED_PAD src0_sel:WORD_0 src1_sel:DWORD
	v_lshrrev_b32_e32 v34, 17, v21
	v_mul_lo_u16_e32 v21, 3, v34
	v_sub_u16_e32 v35, v20, v21
	v_add_u32_e32 v21, 0x2f4, v168
	v_mul_u32_u24_sdwa v28, v21, s8 dst_sel:DWORD dst_unused:UNUSED_PAD src0_sel:WORD_0 src1_sel:DWORD
	v_lshrrev_b32_e32 v33, 17, v28
	v_mul_lo_u16_e32 v28, 3, v33
	v_lshlrev_b32_e32 v20, 5, v35
	v_sub_u16_e32 v32, v21, v28
	global_load_dwordx4 v[124:127], v20, s[12:13]
	v_lshlrev_b32_e32 v21, 5, v32
	global_load_dwordx4 v[128:131], v21, s[12:13]
	global_load_dwordx4 v[189:192], v20, s[12:13] offset:16
	global_load_dwordx4 v[193:196], v21, s[12:13] offset:16
	v_add_u32_e32 v20, 0x360, v168
	v_mul_u32_u24_sdwa v21, v20, s8 dst_sel:DWORD dst_unused:UNUSED_PAD src0_sel:WORD_0 src1_sel:DWORD
	v_lshrrev_b32_e32 v37, 17, v21
	v_mul_lo_u16_e32 v21, 3, v37
	v_sub_u16_e32 v36, v20, v21
	v_lshlrev_b32_e32 v28, 5, v36
	global_load_dwordx4 v[197:200], v28, s[12:13]
	v_add_u32_e32 v20, 0x3cc, v168
	v_mul_u32_u24_sdwa v21, v20, s8 dst_sel:DWORD dst_unused:UNUSED_PAD src0_sel:WORD_0 src1_sel:DWORD
	v_lshrrev_b32_e32 v38, 17, v21
	v_mul_lo_u16_e32 v21, 3, v38
	v_sub_u16_e32 v39, v20, v21
	v_lshlrev_b32_e32 v29, 5, v39
	global_load_dwordx4 v[201:204], v29, s[12:13]
	ds_read2_b64 v[78:81], v171 offset0:56 offset1:164
	global_load_dwordx4 v[205:208], v28, s[12:13] offset:16
	global_load_dwordx4 v[209:212], v29, s[12:13] offset:16
	ds_read2_b64 v[86:89], v170 offset0:112 offset1:220
	v_mul_u32_u24_e32 v2, 0x48, v2
	v_mul_u32_u24_e32 v6, 0x48, v6
	v_lshlrev_b32_e32 v7, 3, v7
	s_mov_b32 s8, 0xe38f
	s_mov_b32 s20, 0x134454ff
	;; [unrolled: 1-line block ×13, first 2 shown]
	s_waitcnt vmcnt(19) lgkmcnt(1)
	v_mul_f64 v[20:21], v[78:79], v[42:43]
	v_mul_f64 v[28:29], v[160:161], v[42:43]
	s_waitcnt vmcnt(18)
	v_mul_f64 v[42:43], v[80:81], v[46:47]
	v_mul_f64 v[90:91], v[162:163], v[46:47]
	s_waitcnt vmcnt(16) lgkmcnt(0)
	v_mul_f64 v[94:95], v[88:89], v[60:61]
	v_mul_f64 v[60:61], v[158:159], v[60:61]
	;; [unrolled: 1-line block ×4, first 2 shown]
	v_fma_f64 v[160:161], v[160:161], v[40:41], v[20:21]
	ds_read2_b64 v[46:49], v176 offset0:16 offset1:124
	v_fma_f64 v[213:214], v[78:79], v[40:41], -v[28:29]
	v_fma_f64 v[20:21], v[162:163], v[44:45], v[42:43]
	ds_read2_b64 v[40:43], v177 offset0:72 offset1:180
	v_fma_f64 v[162:163], v[80:81], v[44:45], -v[90:91]
	v_fma_f64 v[28:29], v[158:159], v[58:59], v[94:95]
	v_fma_f64 v[94:95], v[88:89], v[58:59], -v[60:61]
	s_waitcnt vmcnt(15) lgkmcnt(1)
	v_mul_f64 v[78:79], v[46:47], v[64:65]
	v_mul_f64 v[44:45], v[152:153], v[64:65]
	s_waitcnt vmcnt(13)
	v_mul_f64 v[58:59], v[48:49], v[72:73]
	v_mul_f64 v[60:61], v[154:155], v[72:73]
	s_waitcnt lgkmcnt(0)
	v_mul_f64 v[64:65], v[40:41], v[68:69]
	v_mul_f64 v[68:69], v[148:149], v[68:69]
	s_waitcnt vmcnt(12)
	v_mul_f64 v[72:73], v[42:43], v[76:77]
	v_mul_f64 v[76:77], v[150:151], v[76:77]
	v_fma_f64 v[156:157], v[156:157], v[54:55], v[92:93]
	v_fma_f64 v[215:216], v[86:87], v[54:55], -v[56:57]
	ds_read2_b64 v[54:57], v179 offset0:104 offset1:212
	v_fma_f64 v[88:89], v[152:153], v[62:63], v[78:79]
	v_fma_f64 v[152:153], v[46:47], v[62:63], -v[44:45]
	v_fma_f64 v[92:93], v[154:155], v[70:71], v[58:59]
	v_fma_f64 v[58:59], v[48:49], v[70:71], -v[60:61]
	s_waitcnt vmcnt(11) lgkmcnt(0)
	v_mul_f64 v[44:45], v[54:55], v[110:111]
	v_fma_f64 v[100:101], v[148:149], v[66:67], v[64:65]
	v_fma_f64 v[86:87], v[40:41], v[66:67], -v[68:69]
	v_fma_f64 v[80:81], v[42:43], v[74:75], -v[76:77]
	ds_read2_b64 v[40:43], v180 offset0:32 offset1:140
	s_waitcnt vmcnt(10)
	v_mul_f64 v[62:63], v[138:139], v[114:115]
	s_waitcnt vmcnt(9)
	v_mul_f64 v[66:67], v[132:133], v[118:119]
	;; [unrolled: 2-line block ×3, first 2 shown]
	v_fma_f64 v[90:91], v[136:137], v[108:109], v[44:45]
	s_waitcnt lgkmcnt(0)
	v_mul_f64 v[64:65], v[40:41], v[118:119]
	v_mul_f64 v[68:69], v[42:43], v[122:123]
	;; [unrolled: 1-line block ×3, first 2 shown]
	ds_read2_b64 v[44:47], v174 offset0:64 offset1:172
	v_fma_f64 v[110:111], v[56:57], v[112:113], -v[62:63]
	v_fma_f64 v[98:99], v[40:41], v[116:117], -v[66:67]
	;; [unrolled: 1-line block ×3, first 2 shown]
	ds_read2_b64 v[40:43], v172 offset0:120 offset1:228
	v_fma_f64 v[96:97], v[150:151], v[74:75], v[72:73]
	v_mul_f64 v[60:61], v[56:57], v[114:115]
	v_fma_f64 v[102:103], v[132:133], v[116:117], v[64:65]
	v_fma_f64 v[64:65], v[134:135], v[120:121], v[68:69]
	s_waitcnt vmcnt(7)
	v_mul_f64 v[68:69], v[144:145], v[126:127]
	s_waitcnt vmcnt(6) lgkmcnt(1)
	v_mul_f64 v[70:71], v[46:47], v[130:131]
	s_waitcnt vmcnt(5) lgkmcnt(0)
	v_mul_f64 v[72:73], v[40:41], v[191:192]
	v_mul_f64 v[74:75], v[140:141], v[191:192]
	v_fma_f64 v[108:109], v[54:55], v[108:109], -v[48:49]
	v_fma_f64 v[60:61], v[138:139], v[112:113], v[60:61]
	v_mul_f64 v[48:49], v[44:45], v[126:127]
	ds_read2_b64 v[54:57], v182 offset0:24 offset1:132
	v_fma_f64 v[112:113], v[44:45], v[124:125], -v[68:69]
	v_fma_f64 v[68:69], v[146:147], v[128:129], v[70:71]
	s_waitcnt vmcnt(4)
	v_mul_f64 v[70:71], v[142:143], v[195:196]
	v_fma_f64 v[78:79], v[140:141], v[189:190], v[72:73]
	v_fma_f64 v[72:73], v[40:41], v[189:190], -v[74:75]
	s_waitcnt vmcnt(3)
	v_mul_f64 v[40:41], v[82:83], v[199:200]
	v_fma_f64 v[66:67], v[144:145], v[124:125], v[48:49]
	v_mul_f64 v[48:49], v[146:147], v[130:131]
	v_mul_f64 v[76:77], v[42:43], v[195:196]
	s_waitcnt lgkmcnt(0)
	v_mul_f64 v[114:115], v[54:55], v[199:200]
	v_fma_f64 v[70:71], v[42:43], v[193:194], -v[70:71]
	s_waitcnt vmcnt(2)
	v_mul_f64 v[42:43], v[56:57], v[203:204]
	v_mov_b32_e32 v140, 3
	v_fma_f64 v[120:121], v[54:55], v[197:198], -v[40:41]
	v_add_f64 v[54:55], v[160:161], v[156:157]
	v_fma_f64 v[116:117], v[46:47], v[128:129], -v[48:49]
	v_add_f64 v[128:129], v[213:214], -v[215:216]
	ds_read2_b64 v[44:47], v183 offset0:80 offset1:188
	v_lshlrev_b32_sdwa v3, v140, v3 dst_sel:DWORD dst_unused:UNUSED_PAD src0_sel:DWORD src1_sel:BYTE_0
	v_fma_f64 v[122:123], v[84:85], v[201:202], v[42:43]
	v_add_f64 v[42:43], v[50:51], v[160:161]
	v_fma_f64 v[74:75], v[142:143], v[193:194], v[76:77]
	v_fma_f64 v[126:127], v[54:55], -0.5, v[50:51]
	v_fma_f64 v[76:77], v[82:83], v[197:198], v[114:115]
	v_mul_f64 v[48:49], v[84:85], v[203:204]
	s_waitcnt vmcnt(1) lgkmcnt(0)
	v_mul_f64 v[82:83], v[44:45], v[207:208]
	v_mul_f64 v[114:115], v[104:105], v[207:208]
	s_waitcnt vmcnt(0)
	v_mul_f64 v[118:119], v[46:47], v[211:212]
	v_mul_f64 v[40:41], v[106:107], v[211:212]
	v_add3_u32 v158, 0, v2, v3
	v_add_f64 v[2:3], v[42:43], v[156:157]
	v_fma_f64 v[130:131], v[128:129], s[2:3], v[126:127]
	v_add_f64 v[132:133], v[20:21], v[28:29]
	v_fma_f64 v[124:125], v[56:57], v[201:202], -v[48:49]
	v_fma_f64 v[104:105], v[104:105], v[205:206], v[82:83]
	v_fma_f64 v[114:115], v[44:45], v[205:206], -v[114:115]
	v_fma_f64 v[106:107], v[106:107], v[209:210], v[118:119]
	v_fma_f64 v[118:119], v[46:47], v[209:210], -v[40:41]
	ds_read2_b64 v[40:43], v169 offset1:108
	ds_read2_b64 v[44:47], v175 offset0:88 offset1:196
	ds_read2_b64 v[48:51], v178 offset0:48 offset1:156
	;; [unrolled: 1-line block ×4, first 2 shown]
	s_waitcnt lgkmcnt(0)
	s_barrier
	ds_write2_b64 v158, v[2:3], v[130:131] offset1:3
	v_add_f64 v[2:3], v[213:214], v[215:216]
	v_fma_f64 v[126:127], v[128:129], s[4:5], v[126:127]
	v_fma_f64 v[128:129], v[132:133], -0.5, v[52:53]
	v_add_f64 v[132:133], v[88:89], v[100:101]
	v_add_f64 v[130:131], v[162:163], v[94:95]
	;; [unrolled: 1-line block ×3, first 2 shown]
	v_add_f64 v[136:137], v[162:163], -v[94:95]
	v_add_f64 v[134:135], v[40:41], v[213:214]
	v_fma_f64 v[138:139], v[2:3], -0.5, v[40:41]
	v_add_f64 v[2:3], v[22:23], v[88:89]
	v_add_f64 v[40:41], v[152:153], -v[86:87]
	v_fma_f64 v[22:23], v[132:133], -0.5, v[22:23]
	v_fma_f64 v[130:131], v[130:131], -0.5, v[42:43]
	v_add_f64 v[141:142], v[42:43], v[162:163]
	v_add_f64 v[42:43], v[52:53], v[28:29]
	v_fma_f64 v[52:53], v[136:137], s[2:3], v[128:129]
	v_fma_f64 v[128:129], v[136:137], s[4:5], v[128:129]
	ds_write_b64 v158, v[126:127] offset:48
	v_mul_u32_u24_e32 v126, 0x48, v0
	v_lshlrev_b32_sdwa v127, v140, v1 dst_sel:DWORD dst_unused:UNUSED_PAD src0_sel:DWORD src1_sel:BYTE_0
	v_add_f64 v[0:1], v[2:3], v[100:101]
	v_fma_f64 v[2:3], v[40:41], s[2:3], v[22:23]
	v_add3_u32 v159, 0, v126, v127
	ds_write2_b64 v159, v[42:43], v[52:53] offset1:3
	ds_write_b64 v159, v[128:129] offset:48
	v_add_f64 v[42:43], v[92:93], v[96:97]
	v_add3_u32 v162, 0, v6, v7
	v_fma_f64 v[6:7], v[40:41], s[4:5], v[22:23]
	v_add_f64 v[40:41], v[90:91], v[102:103]
	v_add_f64 v[126:127], v[44:45], v[152:153]
	ds_write2_b64 v162, v[0:1], v[2:3] offset1:3
	v_add_f64 v[0:1], v[152:153], v[86:87]
	v_add_f64 v[2:3], v[58:59], v[80:81]
	v_fma_f64 v[22:23], v[42:43], -0.5, v[24:25]
	v_add_f64 v[42:43], v[58:59], -v[80:81]
	v_add_f64 v[24:25], v[24:25], v[92:93]
	ds_write_b64 v162, v[6:7] offset:48
	v_add_f64 v[153:154], v[20:21], -v[28:29]
	v_add_f64 v[136:137], v[46:47], v[58:59]
	v_fma_f64 v[128:129], v[0:1], -0.5, v[44:45]
	v_fma_f64 v[132:133], v[2:3], -0.5, v[46:47]
	v_add_f64 v[0:1], v[16:17], v[90:91]
	v_fma_f64 v[2:3], v[40:41], -0.5, v[16:17]
	v_add_f64 v[16:17], v[108:109], -v[98:99]
	v_fma_f64 v[6:7], v[42:43], s[4:5], v[22:23]
	v_fma_f64 v[40:41], v[42:43], s[2:3], v[22:23]
	v_mul_u32_u24_e32 v22, 0x48, v4
	v_lshlrev_b32_e32 v23, 3, v5
	v_add_f64 v[24:25], v[24:25], v[96:97]
	v_add_f64 v[0:1], v[0:1], v[102:103]
	v_add3_u32 v163, 0, v22, v23
	v_fma_f64 v[4:5], v[16:17], s[2:3], v[2:3]
	v_add_f64 v[22:23], v[60:61], v[64:65]
	ds_write_b64 v163, v[6:7] offset:48
	v_mul_u32_u24_e32 v6, 0x48, v30
	v_lshlrev_b32_e32 v7, 3, v31
	v_add3_u32 v189, 0, v6, v7
	ds_write2_b64 v163, v[24:25], v[40:41] offset1:3
	v_fma_f64 v[2:3], v[16:17], s[4:5], v[2:3]
	ds_write2_b64 v189, v[0:1], v[4:5] offset1:3
	v_add_f64 v[4:5], v[110:111], v[62:63]
	v_fma_f64 v[6:7], v[22:23], -0.5, v[18:19]
	v_add_f64 v[22:23], v[110:111], -v[62:63]
	v_add_f64 v[0:1], v[108:109], v[98:99]
	v_add_f64 v[18:19], v[18:19], v[60:61]
	;; [unrolled: 1-line block ×3, first 2 shown]
	ds_write_b64 v189, v[2:3] offset:48
	v_mul_u32_u24_e32 v2, 0x48, v26
	v_fma_f64 v[145:146], v[4:5], -0.5, v[50:51]
	v_lshlrev_b32_e32 v3, 3, v27
	v_fma_f64 v[4:5], v[22:23], s[2:3], v[6:7]
	v_fma_f64 v[6:7], v[22:23], s[4:5], v[6:7]
	v_fma_f64 v[143:144], v[0:1], -0.5, v[48:49]
	v_add_f64 v[0:1], v[18:19], v[64:65]
	v_add_f64 v[18:19], v[12:13], v[66:67]
	v_fma_f64 v[12:13], v[16:17], -0.5, v[12:13]
	v_add_f64 v[16:17], v[112:113], -v[72:73]
	v_add3_u32 v190, 0, v2, v3
	v_add_f64 v[94:95], v[141:142], v[94:95]
	ds_write_b64 v190, v[6:7] offset:48
	v_mul_u32_u24_e32 v6, 0x48, v34
	v_lshlrev_b32_e32 v7, 3, v35
	ds_write2_b64 v190, v[0:1], v[4:5] offset1:3
	v_add_f64 v[0:1], v[18:19], v[78:79]
	v_fma_f64 v[2:3], v[16:17], s[2:3], v[12:13]
	v_add_f64 v[4:5], v[68:69], v[74:75]
	v_add3_u32 v191, 0, v6, v7
	v_add_f64 v[6:7], v[112:113], v[72:73]
	v_add_f64 v[18:19], v[116:117], v[70:71]
	v_add_f64 v[88:89], v[88:89], -v[100:101]
	v_add_f64 v[92:93], v[92:93], -v[96:97]
	v_add_f64 v[108:109], v[48:49], v[108:109]
	ds_write2_b64 v191, v[0:1], v[2:3] offset1:3
	v_fma_f64 v[0:1], v[16:17], s[4:5], v[12:13]
	v_fma_f64 v[2:3], v[4:5], -0.5, v[14:15]
	v_add_f64 v[4:5], v[14:15], v[68:69]
	v_add_f64 v[12:13], v[116:117], -v[70:71]
	v_fma_f64 v[147:148], v[6:7], -0.5, v[54:55]
	v_add_f64 v[6:7], v[76:77], v[104:105]
	v_mul_u32_u24_e32 v16, 0x48, v33
	v_lshlrev_b32_e32 v17, 3, v32
	ds_write_b64 v191, v[0:1] offset:48
	v_add_f64 v[14:15], v[122:123], v[106:107]
	v_add_f64 v[0:1], v[4:5], v[74:75]
	v_fma_f64 v[4:5], v[12:13], s[2:3], v[2:3]
	v_fma_f64 v[2:3], v[12:13], s[4:5], v[2:3]
	v_add_f64 v[12:13], v[8:9], v[76:77]
	v_fma_f64 v[6:7], v[6:7], -0.5, v[8:9]
	v_add_f64 v[8:9], v[120:121], -v[114:115]
	v_add3_u32 v192, 0, v16, v17
	v_add_f64 v[16:17], v[124:125], v[118:119]
	ds_write2_b64 v192, v[0:1], v[4:5] offset1:3
	ds_write_b64 v192, v[2:3] offset:48
	v_fma_f64 v[4:5], v[14:15], -0.5, v[10:11]
	v_add_f64 v[0:1], v[12:13], v[104:105]
	v_add_f64 v[10:11], v[10:11], v[122:123]
	v_fma_f64 v[2:3], v[8:9], s[2:3], v[6:7]
	v_add_f64 v[14:15], v[124:125], -v[118:119]
	v_fma_f64 v[151:152], v[16:17], -0.5, v[84:85]
	v_add_f64 v[84:85], v[84:85], v[124:125]
	v_add_f64 v[124:125], v[134:135], v[215:216]
	v_add_f64 v[134:135], v[160:161], -v[156:157]
	v_fma_f64 v[149:150], v[18:19], -0.5, v[56:57]
	v_mul_u32_u24_e32 v18, 0x48, v37
	v_lshlrev_b32_e32 v19, 3, v36
	v_add3_u32 v193, 0, v18, v19
	ds_write2_b64 v193, v[0:1], v[2:3] offset1:3
	v_fma_f64 v[0:1], v[8:9], s[4:5], v[6:7]
	v_add_f64 v[12:13], v[120:121], v[114:115]
	v_add_f64 v[2:3], v[10:11], v[106:107]
	v_fma_f64 v[6:7], v[14:15], s[2:3], v[4:5]
	v_fma_f64 v[4:5], v[14:15], s[4:5], v[4:5]
	;; [unrolled: 1-line block ×5, first 2 shown]
	v_add_f64 v[90:91], v[90:91], -v[102:103]
	v_add_f64 v[110:111], v[50:51], v[110:111]
	v_add_f64 v[60:61], v[60:61], -v[64:65]
	v_add_f64 v[112:113], v[54:55], v[112:113]
	ds_write_b64 v193, v[0:1] offset:48
	v_mul_u32_u24_e32 v0, 0x48, v38
	v_lshlrev_b32_e32 v1, 3, v39
	v_add_f64 v[64:65], v[66:67], -v[78:79]
	v_add3_u32 v194, 0, v0, v1
	v_add_f64 v[116:117], v[56:57], v[116:117]
	v_add_f64 v[120:121], v[82:83], v[120:121]
	v_fma_f64 v[82:83], v[12:13], -0.5, v[82:83]
	ds_write2_b64 v194, v[2:3], v[6:7] offset1:3
	ds_write_b64 v194, v[4:5] offset:48
	s_waitcnt lgkmcnt(0)
	s_barrier
	ds_read2_b64 v[4:7], v169 offset1:108
	ds_read2_b64 v[0:3], v175 offset0:88 offset1:196
	ds_read2_b64 v[56:59], v173 offset0:136 offset1:244
	;; [unrolled: 1-line block ×14, first 2 shown]
	s_waitcnt lgkmcnt(0)
	s_barrier
	ds_write2_b64 v158, v[124:125], v[155:156] offset1:3
	ds_write_b64 v158, v[134:135] offset:48
	ds_write2_b64 v159, v[94:95], v[138:139] offset1:3
	v_fma_f64 v[94:95], v[153:154], s[2:3], v[130:131]
	v_add_f64 v[86:87], v[126:127], v[86:87]
	v_fma_f64 v[96:97], v[88:89], s[4:5], v[128:129]
	v_add_f64 v[80:81], v[136:137], v[80:81]
	v_fma_f64 v[100:101], v[92:93], s[4:5], v[132:133]
	v_add_f64 v[66:67], v[68:69], -v[74:75]
	v_fma_f64 v[88:89], v[88:89], s[2:3], v[128:129]
	v_fma_f64 v[92:93], v[92:93], s[2:3], v[132:133]
	v_add_f64 v[98:99], v[108:109], v[98:99]
	v_fma_f64 v[102:103], v[90:91], s[4:5], v[143:144]
	v_add_f64 v[74:75], v[76:77], -v[104:105]
	v_fma_f64 v[90:91], v[90:91], s[2:3], v[143:144]
	v_add_f64 v[62:63], v[110:111], v[62:63]
	v_fma_f64 v[68:69], v[60:61], s[4:5], v[145:146]
	v_add_f64 v[78:79], v[122:123], -v[106:107]
	v_fma_f64 v[60:61], v[60:61], s[2:3], v[145:146]
	v_add_f64 v[72:73], v[112:113], v[72:73]
	v_fma_f64 v[76:77], v[64:65], s[4:5], v[147:148]
	v_fma_f64 v[64:65], v[64:65], s[2:3], v[147:148]
	ds_write_b64 v159, v[94:95] offset:48
	ds_write2_b64 v162, v[86:87], v[96:97] offset1:3
	ds_write_b64 v162, v[88:89] offset:48
	ds_write2_b64 v163, v[80:81], v[100:101] offset1:3
	;; [unrolled: 2-line block ×3, first 2 shown]
	v_add_f64 v[70:71], v[116:117], v[70:71]
	v_fma_f64 v[80:81], v[66:67], s[4:5], v[149:150]
	v_fma_f64 v[66:67], v[66:67], s[2:3], v[149:150]
	v_add_f64 v[86:87], v[120:121], v[114:115]
	v_fma_f64 v[88:89], v[74:75], s[4:5], v[82:83]
	v_fma_f64 v[74:75], v[74:75], s[2:3], v[82:83]
	ds_write_b64 v189, v[90:91] offset:48
	v_add_f64 v[82:83], v[84:85], v[118:119]
	v_fma_f64 v[84:85], v[78:79], s[4:5], v[151:152]
	v_fma_f64 v[78:79], v[78:79], s[2:3], v[151:152]
	ds_write2_b64 v190, v[62:63], v[68:69] offset1:3
	ds_write_b64 v190, v[60:61] offset:48
	ds_write2_b64 v191, v[72:73], v[76:77] offset1:3
	ds_write_b64 v191, v[64:65] offset:48
	;; [unrolled: 2-line block ×5, first 2 shown]
	v_mov_b32_e32 v60, 57
	v_mul_lo_u16_sdwa v61, v168, v60 dst_sel:DWORD dst_unused:UNUSED_PAD src0_sel:BYTE_0 src1_sel:DWORD
	v_lshrrev_b16_e32 v130, 9, v61
	v_mul_lo_u16_e32 v61, 9, v130
	v_sub_u16_e32 v131, v168, v61
	v_mov_b32_e32 v61, 9
	v_mul_u32_u24_sdwa v62, v131, v61 dst_sel:DWORD dst_unused:UNUSED_PAD src0_sel:BYTE_0 src1_sel:DWORD
	v_lshlrev_b32_e32 v64, 4, v62
	s_waitcnt lgkmcnt(0)
	s_barrier
	global_load_dwordx4 v[65:68], v64, s[12:13] offset:112
	v_mul_lo_u16_sdwa v60, v188, v60 dst_sel:DWORD dst_unused:UNUSED_PAD src0_sel:BYTE_0 src1_sel:DWORD
	v_lshrrev_b16_e32 v142, 9, v60
	v_mul_lo_u16_e32 v60, 9, v142
	v_sub_u16_e32 v141, v188, v60
	v_mul_u32_u24_sdwa v60, v141, v61 dst_sel:DWORD dst_unused:UNUSED_PAD src0_sel:BYTE_0 src1_sel:DWORD
	v_lshlrev_b32_e32 v161, 4, v60
	global_load_dwordx4 v[69:72], v161, s[12:13] offset:112
	global_load_dwordx4 v[73:76], v64, s[12:13] offset:144
	;; [unrolled: 1-line block ×8, first 2 shown]
	v_mul_u32_u24_sdwa v60, v187, s8 dst_sel:DWORD dst_unused:UNUSED_PAD src0_sel:WORD_0 src1_sel:DWORD
	v_lshrrev_b32_e32 v144, 19, v60
	v_mul_lo_u16_e32 v60, 9, v144
	v_sub_u16_e32 v143, v187, v60
	v_mul_u32_u24_e32 v60, 9, v143
	v_lshlrev_b32_e32 v162, 4, v60
	global_load_dwordx4 v[120:123], v162, s[12:13] offset:96
	global_load_dwordx4 v[124:127], v64, s[12:13] offset:128
	;; [unrolled: 1-line block ×6, first 2 shown]
	ds_read2_b64 v[100:103], v173 offset0:136 offset1:244
	global_load_dwordx4 v[60:63], v64, s[12:13] offset:96
	global_load_dwordx4 v[153:156], v162, s[12:13] offset:144
	;; [unrolled: 1-line block ×4, first 2 shown]
	ds_read2_b64 v[104:107], v176 offset0:16 offset1:124
	global_load_dwordx4 v[193:196], v64, s[12:13] offset:192
	global_load_dwordx4 v[209:212], v64, s[12:13] offset:224
	;; [unrolled: 1-line block ×7, first 2 shown]
	s_mov_b32 s8, s20
	v_mul_u32_u24_e32 v163, 0x2d0, v130
	s_mov_b32 s24, s18
	s_mov_b32 s27, 0xbfe9e377
	;; [unrolled: 1-line block ×3, first 2 shown]
	v_mul_u32_u24_e32 v142, 0x2d0, v142
	s_waitcnt vmcnt(25) lgkmcnt(1)
	v_mul_f64 v[86:87], v[100:101], v[67:68]
	v_mul_f64 v[67:68], v[56:57], v[67:68]
	s_waitcnt vmcnt(23) lgkmcnt(0)
	v_mul_f64 v[112:113], v[104:105], v[75:76]
	v_mul_f64 v[75:76], v[52:53], v[75:76]
	s_waitcnt vmcnt(22)
	v_mul_f64 v[116:117], v[106:107], v[79:80]
	v_mul_f64 v[118:119], v[54:55], v[79:80]
	v_fma_f64 v[56:57], v[56:57], v[65:66], v[86:87]
	v_mul_f64 v[86:87], v[102:103], v[71:72]
	v_fma_f64 v[114:115], v[100:101], v[65:66], -v[67:68]
	ds_read2_b64 v[65:68], v182 offset0:24 offset1:132
	v_mul_f64 v[71:72], v[58:59], v[71:72]
	s_waitcnt vmcnt(21) lgkmcnt(0)
	v_mul_f64 v[128:129], v[65:66], v[84:85]
	v_fma_f64 v[100:101], v[58:59], v[69:70], v[86:87]
	v_fma_f64 v[58:59], v[52:53], v[73:74], v[112:113]
	v_fma_f64 v[52:53], v[104:105], v[73:74], -v[75:76]
	s_waitcnt vmcnt(20)
	v_mul_f64 v[75:76], v[67:68], v[90:91]
	v_fma_f64 v[80:81], v[102:103], v[69:70], -v[71:72]
	v_fma_f64 v[102:103], v[54:55], v[77:78], v[116:117]
	v_fma_f64 v[86:87], v[106:107], v[77:78], -v[118:119]
	v_mul_f64 v[73:74], v[48:49], v[84:85]
	v_fma_f64 v[54:55], v[48:49], v[82:83], v[128:129]
	v_mul_f64 v[77:78], v[50:51], v[90:91]
	ds_read2_b64 v[69:72], v180 offset0:32 offset1:140
	v_fma_f64 v[104:105], v[50:51], v[88:89], v[75:76]
	global_load_dwordx4 v[48:51], v162, s[12:13] offset:224
	s_waitcnt vmcnt(17)
	v_mul_f64 v[112:113], v[42:43], v[122:123]
	s_waitcnt lgkmcnt(0)
	v_mul_f64 v[84:85], v[69:70], v[94:95]
	v_fma_f64 v[116:117], v[65:66], v[82:83], -v[73:74]
	v_fma_f64 v[88:89], v[67:68], v[88:89], -v[77:78]
	ds_read2_b64 v[64:67], v178 offset0:48 offset1:156
	v_mul_f64 v[82:83], v[71:72], v[98:99]
	v_mul_f64 v[77:78], v[44:45], v[94:95]
	ds_read2_b64 v[73:76], v181 offset0:96 offset1:204
	v_fma_f64 v[118:119], v[44:45], v[92:93], v[84:85]
	v_mul_f64 v[84:85], v[46:47], v[98:99]
	s_waitcnt lgkmcnt(1)
	v_mul_f64 v[94:95], v[64:65], v[110:111]
	v_mul_f64 v[98:99], v[40:41], v[110:111]
	;; [unrolled: 1-line block ×3, first 2 shown]
	v_fma_f64 v[106:107], v[46:47], v[96:97], v[82:83]
	v_fma_f64 v[44:45], v[69:70], v[92:93], -v[77:78]
	s_waitcnt vmcnt(16) lgkmcnt(0)
	v_mul_f64 v[68:69], v[75:76], v[126:127]
	v_fma_f64 v[90:91], v[71:72], v[96:97], -v[84:85]
	ds_read2_b64 v[82:85], v171 offset0:56 offset1:164
	v_fma_f64 v[46:47], v[40:41], v[108:109], v[94:95]
	v_fma_f64 v[40:41], v[42:43], v[120:121], v[110:111]
	v_mul_f64 v[42:43], v[34:35], v[126:127]
	v_fma_f64 v[108:109], v[64:65], v[108:109], -v[98:99]
	v_fma_f64 v[64:65], v[66:67], v[120:121], -v[112:113]
	s_waitcnt vmcnt(15)
	v_mul_f64 v[66:67], v[73:74], v[134:135]
	s_waitcnt vmcnt(13) lgkmcnt(0)
	v_mul_f64 v[98:99], v[84:85], v[147:148]
	ds_read2_b64 v[92:95], v179 offset0:104 offset1:212
	v_fma_f64 v[122:123], v[34:35], v[124:125], v[68:69]
	v_mul_f64 v[70:71], v[32:33], v[134:135]
	v_mul_f64 v[77:78], v[82:83], v[138:139]
	v_fma_f64 v[34:35], v[75:76], v[124:125], -v[42:43]
	v_mul_f64 v[42:43], v[38:39], v[147:148]
	v_mul_f64 v[96:97], v[36:37], v[138:139]
	v_fma_f64 v[68:69], v[32:33], v[132:133], v[66:67]
	s_waitcnt vmcnt(12) lgkmcnt(0)
	v_mul_f64 v[112:113], v[94:95], v[151:152]
	v_fma_f64 v[32:33], v[38:39], v[145:146], v[98:99]
	v_mul_f64 v[38:39], v[26:27], v[151:152]
	v_fma_f64 v[66:67], v[73:74], v[132:133], -v[70:71]
	v_fma_f64 v[36:37], v[36:37], v[136:137], v[77:78]
	ds_read2_b64 v[76:79], v174 offset0:64 offset1:172
	v_fma_f64 v[70:71], v[84:85], v[145:146], -v[42:43]
	s_waitcnt vmcnt(10)
	v_mul_f64 v[42:43], v[92:93], v[155:156]
	v_fma_f64 v[110:111], v[82:83], v[136:137], -v[96:97]
	v_fma_f64 v[124:125], v[26:27], v[149:150], v[112:113]
	v_fma_f64 v[26:27], v[94:95], v[149:150], -v[38:39]
	ds_read2_b64 v[94:97], v170 offset0:112 offset1:220
	s_waitcnt vmcnt(9) lgkmcnt(1)
	v_mul_f64 v[82:83], v[76:77], v[159:160]
	v_mul_f64 v[98:99], v[28:29], v[159:160]
	s_waitcnt vmcnt(8)
	v_mul_f64 v[120:121], v[78:79], v[191:192]
	v_mul_f64 v[72:73], v[24:25], v[155:156]
	;; [unrolled: 1-line block ×3, first 2 shown]
	v_fma_f64 v[84:85], v[24:25], v[153:154], v[42:43]
	s_waitcnt vmcnt(7) lgkmcnt(0)
	v_mul_f64 v[24:25], v[96:97], v[195:196]
	ds_read2_b64 v[132:135], v177 offset0:72 offset1:180
	v_fma_f64 v[38:39], v[28:29], v[157:158], v[82:83]
	v_fma_f64 v[112:113], v[76:77], v[157:158], -v[98:99]
	v_fma_f64 v[28:29], v[30:31], v[189:190], v[120:121]
	v_mul_f64 v[30:31], v[10:11], v[195:196]
	s_waitcnt vmcnt(5)
	v_mul_f64 v[76:77], v[8:9], v[199:200]
	s_waitcnt vmcnt(4) lgkmcnt(0)
	v_mul_f64 v[82:83], v[134:135], v[207:208]
	v_fma_f64 v[74:75], v[92:93], v[153:154], -v[72:73]
	v_fma_f64 v[72:73], v[78:79], v[189:190], -v[126:127]
	v_mul_f64 v[42:43], v[94:95], v[199:200]
	s_waitcnt vmcnt(3)
	v_mul_f64 v[78:79], v[132:133], v[203:204]
	v_fma_f64 v[126:127], v[10:11], v[193:194], v[24:25]
	v_mul_f64 v[10:11], v[20:21], v[203:204]
	ds_read2_b64 v[136:139], v172 offset0:120 offset1:228
	v_mul_f64 v[98:99], v[22:23], v[207:208]
	v_fma_f64 v[24:25], v[96:97], v[193:194], -v[30:31]
	v_fma_f64 v[76:77], v[94:95], v[197:198], -v[76:77]
	v_fma_f64 v[30:31], v[22:23], v[205:206], v[82:83]
	s_waitcnt lgkmcnt(0)
	v_mul_f64 v[82:83], v[138:139], v[211:212]
	v_mul_f64 v[94:95], v[18:19], v[211:212]
	s_waitcnt vmcnt(1)
	v_mul_f64 v[120:121], v[16:17], v[215:216]
	v_fma_f64 v[92:93], v[8:9], v[197:198], v[42:43]
	v_fma_f64 v[42:43], v[20:21], v[201:202], v[78:79]
	v_fma_f64 v[96:97], v[132:133], v[201:202], -v[10:11]
	ds_read2_b64 v[20:23], v183 offset0:80 offset1:188
	ds_read2_b64 v[8:11], v175 offset0:88 offset1:196
	v_fma_f64 v[78:79], v[134:135], v[205:206], -v[98:99]
	v_mul_f64 v[98:99], v[136:137], v[215:216]
	v_mul_f64 v[134:135], v[12:13], v[219:220]
	s_waitcnt lgkmcnt(1)
	v_mul_f64 v[132:133], v[20:21], v[219:220]
	s_waitcnt vmcnt(0)
	v_mul_f64 v[145:146], v[22:23], v[50:51]
	v_fma_f64 v[128:129], v[18:19], v[209:210], v[82:83]
	v_fma_f64 v[18:19], v[138:139], v[209:210], -v[94:95]
	v_fma_f64 v[82:83], v[136:137], v[213:214], -v[120:121]
	s_waitcnt lgkmcnt(0)
	v_mul_f64 v[120:121], v[10:11], v[62:63]
	v_fma_f64 v[94:95], v[16:17], v[213:214], v[98:99]
	v_fma_f64 v[98:99], v[20:21], v[217:218], -v[134:135]
	v_fma_f64 v[16:17], v[12:13], v[217:218], v[132:133]
	v_fma_f64 v[12:13], v[14:15], v[48:49], v[145:146]
	v_mul_f64 v[20:21], v[2:3], v[62:63]
	v_add_f64 v[62:63], v[56:57], -v[58:59]
	v_add_f64 v[132:133], v[118:119], -v[54:55]
	v_mul_f64 v[50:51], v[14:15], v[50:51]
	v_fma_f64 v[14:15], v[2:3], v[60:61], v[120:121]
	v_add_f64 v[120:121], v[34:35], -v[26:27]
	v_add_f64 v[134:135], v[18:19], -v[24:25]
	v_add_f64 v[136:137], v[4:5], v[56:57]
	v_add_f64 v[138:139], v[58:59], v[54:55]
	v_fma_f64 v[2:3], v[10:11], v[60:61], -v[20:21]
	v_add_f64 v[60:61], v[62:63], v[132:133]
	v_add_f64 v[147:148], v[114:115], -v[44:45]
	v_add_f64 v[149:150], v[34:35], -v[18:19]
	v_add_f64 v[153:154], v[14:15], v[122:123]
	v_add_f64 v[132:133], v[120:121], v[134:135]
	;; [unrolled: 1-line block ×4, first 2 shown]
	v_fma_f64 v[134:135], v[138:139], -0.5, v[4:5]
	v_add_f64 v[10:11], v[122:123], -v[124:125]
	v_add_f64 v[62:63], v[128:129], -v[126:127]
	;; [unrolled: 1-line block ×4, first 2 shown]
	v_add_f64 v[153:154], v[153:154], v[124:125]
	v_add_f64 v[20:21], v[26:27], v[24:25]
	v_fma_f64 v[136:137], v[136:137], -0.5, v[14:15]
	v_fma_f64 v[155:156], v[147:148], s[20:21], v[134:135]
	v_add_f64 v[191:192], v[122:123], v[128:129]
	v_add_f64 v[62:63], v[10:11], v[62:63]
	;; [unrolled: 1-line block ×3, first 2 shown]
	v_fma_f64 v[120:121], v[22:23], v[48:49], -v[50:51]
	v_add_f64 v[22:23], v[153:154], v[126:127]
	v_add_f64 v[153:154], v[34:35], v[18:19]
	v_fma_f64 v[159:160], v[149:150], s[20:21], v[136:137]
	v_fma_f64 v[155:156], v[157:158], s[16:17], v[155:156]
	v_fma_f64 v[138:139], v[20:21], -0.5, v[2:3]
	v_add_f64 v[145:146], v[122:123], -v[128:129]
	v_add_f64 v[151:152], v[124:125], -v[126:127]
	v_add_f64 v[48:49], v[10:11], v[118:119]
	v_add_f64 v[189:190], v[54:55], -v[118:119]
	v_fma_f64 v[153:154], v[153:154], -0.5, v[2:3]
	v_fma_f64 v[159:160], v[161:162], s[16:17], v[159:160]
	v_fma_f64 v[50:51], v[60:61], s[18:19], v[155:156]
	v_add_f64 v[155:156], v[56:57], v[118:119]
	v_fma_f64 v[14:15], v[191:192], -0.5, v[14:15]
	v_fma_f64 v[20:21], v[145:146], s[8:9], v[138:139]
	v_add_f64 v[22:23], v[22:23], v[128:129]
	v_add_f64 v[122:123], v[124:125], -v[122:123]
	v_fma_f64 v[124:125], v[151:152], s[20:21], v[153:154]
	v_fma_f64 v[10:11], v[62:63], s[18:19], v[159:160]
	v_add_f64 v[159:160], v[58:59], -v[56:57]
	v_fma_f64 v[4:5], v[155:156], -0.5, v[4:5]
	v_add_f64 v[126:127], v[126:127], -v[128:129]
	v_fma_f64 v[128:129], v[151:152], s[8:9], v[153:154]
	v_fma_f64 v[153:154], v[161:162], s[8:9], v[14:15]
	v_fma_f64 v[138:139], v[145:146], s[20:21], v[138:139]
	v_fma_f64 v[20:21], v[151:152], s[14:15], v[20:21]
	v_fma_f64 v[124:125], v[145:146], s[14:15], v[124:125]
	v_add_f64 v[155:156], v[159:160], v[189:190]
	v_add_f64 v[159:160], v[26:27], -v[34:35]
	v_add_f64 v[189:190], v[24:25], -v[18:19]
	v_fma_f64 v[14:15], v[161:162], s[20:21], v[14:15]
	v_fma_f64 v[128:129], v[145:146], s[16:17], v[128:129]
	;; [unrolled: 1-line block ×4, first 2 shown]
	v_add_f64 v[122:123], v[122:123], v[126:127]
	v_fma_f64 v[126:127], v[149:150], s[16:17], v[153:154]
	v_fma_f64 v[145:146], v[149:150], s[8:9], v[136:137]
	v_add_f64 v[159:160], v[159:160], v[189:190]
	v_fma_f64 v[151:152], v[151:152], s[16:17], v[138:139]
	v_fma_f64 v[20:21], v[132:133], s[18:19], v[20:21]
	;; [unrolled: 1-line block ×5, first 2 shown]
	v_lshlrev_b32_sdwa v193, v140, v131 dst_sel:DWORD dst_unused:UNUSED_PAD src0_sel:DWORD src1_sel:BYTE_0
	v_add_f64 v[197:198], v[112:113], -v[96:97]
	v_fma_f64 v[136:137], v[159:160], s[18:19], v[124:125]
	v_fma_f64 v[124:125], v[149:150], s[14:15], v[14:15]
	;; [unrolled: 1-line block ×6, first 2 shown]
	v_mul_f64 v[130:131], v[20:21], s[16:17]
	v_fma_f64 v[149:150], v[155:156], s[18:19], v[189:190]
	v_mul_f64 v[132:133], v[136:137], s[20:21]
	v_fma_f64 v[134:135], v[122:123], s[18:19], v[124:125]
	;; [unrolled: 2-line block ×3, first 2 shown]
	v_fma_f64 v[126:127], v[62:63], s[18:19], v[126:127]
	v_mul_f64 v[62:63], v[128:129], s[16:17]
	v_fma_f64 v[130:131], v[10:11], s[22:23], v[130:131]
	v_fma_f64 v[4:5], v[155:156], s[18:19], v[4:5]
	;; [unrolled: 1-line block ×3, first 2 shown]
	v_add_f64 v[151:152], v[48:49], v[22:23]
	v_fma_f64 v[122:123], v[134:135], s[24:25], v[122:123]
	v_fma_f64 v[124:125], v[60:61], s[18:19], v[124:125]
	v_add_f64 v[22:23], v[48:49], -v[22:23]
	v_fma_f64 v[146:147], v[126:127], s[26:27], v[62:63]
	v_add_f64 v[153:154], v[50:51], v[130:131]
	v_add_f64 v[50:51], v[50:51], -v[130:131]
	v_add_f64 v[155:156], v[149:150], v[132:133]
	v_add_f64 v[130:131], v[149:150], -v[132:133]
	v_add_f64 v[157:158], v[4:5], v[122:123]
	v_add3_u32 v145, 0, v163, v193
	ds_read2_b64 v[60:63], v169 offset1:108
	v_add_f64 v[48:49], v[124:125], v[146:147]
	s_waitcnt lgkmcnt(0)
	s_barrier
	ds_write2_b64 v145, v[151:152], v[153:154] offset1:9
	ds_write2_b64 v145, v[155:156], v[157:158] offset0:18 offset1:27
	ds_write2_b64 v145, v[48:49], v[22:23] offset0:36 offset1:45
	ds_write2_b64 v145, v[50:51], v[130:131] offset0:54 offset1:63
	v_add_f64 v[22:23], v[112:113], v[96:97]
	v_add_f64 v[132:133], v[102:103], v[104:105]
	v_add_f64 v[48:49], v[124:125], -v[146:147]
	v_add_f64 v[146:147], v[38:39], v[42:43]
	v_add_f64 v[148:149], v[36:37], -v[16:17]
	v_add_f64 v[150:151], v[110:111], -v[112:113]
	;; [unrolled: 1-line block ×4, first 2 shown]
	v_fma_f64 v[22:23], v[22:23], -0.5, v[108:109]
	v_fma_f64 v[50:51], v[132:133], -0.5, v[6:7]
	v_add_f64 v[132:133], v[106:107], -v[104:105]
	v_add_f64 v[154:155], v[36:37], -v[38:39]
	;; [unrolled: 1-line block ×4, first 2 shown]
	v_fma_f64 v[146:147], v[146:147], -0.5, v[46:47]
	v_add_f64 v[160:161], v[110:111], -v[98:99]
	v_fma_f64 v[162:163], v[148:149], s[8:9], v[22:23]
	v_add_f64 v[189:190], v[38:39], -v[42:43]
	v_add_f64 v[150:151], v[150:151], v[152:153]
	v_add_f64 v[152:153], v[46:47], v[36:37]
	v_add_f64 v[4:5], v[4:5], -v[122:123]
	v_add_f64 v[122:123], v[100:101], v[106:107]
	v_fma_f64 v[191:192], v[158:159], s[20:21], v[50:51]
	v_add_f64 v[193:194], v[86:87], -v[88:89]
	v_fma_f64 v[195:196], v[160:161], s[20:21], v[146:147]
	v_fma_f64 v[162:163], v[189:190], s[14:15], v[162:163]
	v_add_f64 v[199:200], v[130:131], v[132:133]
	v_add_f64 v[130:131], v[154:155], v[156:157]
	;; [unrolled: 1-line block ×5, first 2 shown]
	v_fma_f64 v[6:7], v[122:123], -0.5, v[6:7]
	v_fma_f64 v[152:153], v[193:194], s[16:17], v[191:192]
	v_fma_f64 v[154:155], v[197:198], s[16:17], v[195:196]
	;; [unrolled: 1-line block ×3, first 2 shown]
	v_add_f64 v[162:163], v[102:103], -v[100:101]
	v_add_f64 v[191:192], v[104:105], -v[106:107]
	v_add_f64 v[195:196], v[36:37], v[16:17]
	v_add_f64 v[201:202], v[132:133], v[42:43]
	v_fma_f64 v[132:133], v[156:157], -0.5, v[108:109]
	v_add_f64 v[36:37], v[38:39], -v[36:37]
	v_add_f64 v[38:39], v[42:43], -v[16:17]
	;; [unrolled: 1-line block ×3, first 2 shown]
	v_fma_f64 v[22:23], v[148:149], s[20:21], v[22:23]
	v_add_f64 v[156:157], v[162:163], v[191:192]
	v_fma_f64 v[46:47], v[195:196], -0.5, v[46:47]
	v_add_f64 v[162:163], v[96:97], -v[98:99]
	v_fma_f64 v[191:192], v[189:190], s[20:21], v[132:133]
	v_fma_f64 v[132:133], v[189:190], s[8:9], v[132:133]
	v_add_f64 v[124:125], v[124:125], v[102:103]
	v_fma_f64 v[146:147], v[160:161], s[8:9], v[146:147]
	v_fma_f64 v[22:23], v[189:190], s[16:17], v[22:23]
	;; [unrolled: 1-line block ×5, first 2 shown]
	v_add_f64 v[42:43], v[42:43], v[162:163]
	v_fma_f64 v[162:163], v[148:149], s[14:15], v[191:192]
	v_fma_f64 v[132:133], v[148:149], s[16:17], v[132:133]
	v_add_f64 v[124:125], v[124:125], v[104:105]
	v_fma_f64 v[6:7], v[193:194], s[20:21], v[6:7]
	v_add_f64 v[36:37], v[36:37], v[38:39]
	v_fma_f64 v[38:39], v[160:161], s[16:17], v[205:206]
	v_fma_f64 v[46:47], v[160:161], s[14:15], v[46:47]
	;; [unrolled: 1-line block ×8, first 2 shown]
	v_add_f64 v[203:204], v[124:125], v[106:107]
	v_fma_f64 v[124:125], v[130:131], s[18:19], v[154:155]
	v_mul_f64 v[154:155], v[122:123], s[16:17]
	v_fma_f64 v[6:7], v[158:159], s[14:15], v[6:7]
	v_fma_f64 v[146:147], v[36:37], s[18:19], v[38:39]
	;; [unrolled: 1-line block ×3, first 2 shown]
	v_mul_f64 v[36:37], v[162:163], s[20:21]
	v_fma_f64 v[38:39], v[193:194], s[14:15], v[42:43]
	v_fma_f64 v[130:131], v[130:131], s[18:19], v[50:51]
	v_mul_f64 v[42:43], v[132:133], s[16:17]
	v_mul_f64 v[22:23], v[160:161], s[20:21]
	v_fma_f64 v[152:153], v[199:200], s[18:19], v[152:153]
	v_add_f64 v[16:17], v[201:202], v[16:17]
	v_fma_f64 v[46:47], v[124:125], s[22:23], v[154:155]
	v_fma_f64 v[6:7], v[156:157], s[18:19], v[6:7]
	;; [unrolled: 1-line block ×7, first 2 shown]
	ds_write2_b64 v145, v[4:5], v[48:49] offset0:72 offset1:81
	v_add_f64 v[4:5], v[203:204], v[16:17]
	v_add_f64 v[48:49], v[152:153], v[46:47]
	;; [unrolled: 1-line block ×3, first 2 shown]
	v_add_f64 v[6:7], v[6:7], -v[36:37]
	v_add_f64 v[156:157], v[38:39], v[42:43]
	v_add_f64 v[36:37], v[38:39], -v[42:43]
	v_add_f64 v[38:39], v[84:85], v[92:93]
	v_add_f64 v[148:149], v[50:51], v[22:23]
	v_add_f64 v[16:17], v[203:204], -v[16:17]
	v_add_f64 v[46:47], v[152:153], -v[46:47]
	;; [unrolled: 1-line block ×3, first 2 shown]
	v_lshlrev_b32_sdwa v42, v140, v141 dst_sel:DWORD dst_unused:UNUSED_PAD src0_sel:DWORD src1_sel:BYTE_0
	v_add3_u32 v141, 0, v142, v42
	ds_write2_b64 v141, v[4:5], v[48:49] offset1:9
	ds_write2_b64 v141, v[148:149], v[154:155] offset0:18 offset1:27
	ds_write2_b64 v141, v[156:157], v[16:17] offset0:36 offset1:45
	;; [unrolled: 1-line block ×4, first 2 shown]
	v_fma_f64 v[6:7], v[38:39], -0.5, v[0:1]
	v_add_f64 v[16:17], v[68:69], v[94:95]
	v_add_f64 v[36:37], v[68:69], -v[84:85]
	v_add_f64 v[38:39], v[94:95], -v[92:93]
	;; [unrolled: 1-line block ×7, first 2 shown]
	v_add_f64 v[156:157], v[40:41], v[32:33]
	v_add_f64 v[4:5], v[72:73], v[78:79]
	;; [unrolled: 1-line block ×3, first 2 shown]
	v_add_f64 v[193:194], v[74:75], -v[76:77]
	v_add_f64 v[36:37], v[36:37], v[38:39]
	v_add_f64 v[50:51], v[50:51], v[148:149]
	;; [unrolled: 1-line block ×3, first 2 shown]
	v_fma_f64 v[148:149], v[154:155], s[20:21], v[6:7]
	v_add_f64 v[156:157], v[156:157], v[28:29]
	v_add_f64 v[152:153], v[70:71], v[120:121]
	v_fma_f64 v[0:1], v[16:17], -0.5, v[0:1]
	v_add_f64 v[16:17], v[32:33], v[12:13]
	v_add_f64 v[46:47], v[28:29], v[30:31]
	v_fma_f64 v[4:5], v[4:5], -0.5, v[64:65]
	v_add_f64 v[48:49], v[32:33], -v[12:13]
	v_add_f64 v[191:192], v[28:29], -v[30:31]
	;; [unrolled: 1-line block ×3, first 2 shown]
	v_fma_f64 v[42:43], v[193:194], s[16:17], v[148:149]
	v_add_f64 v[148:149], v[156:157], v[30:31]
	v_fma_f64 v[152:153], v[152:153], -0.5, v[64:65]
	v_fma_f64 v[16:17], v[16:17], -0.5, v[40:41]
	;; [unrolled: 1-line block ×3, first 2 shown]
	v_add_f64 v[158:159], v[70:71], -v[120:121]
	v_fma_f64 v[189:190], v[48:49], s[8:9], v[4:5]
	v_add_f64 v[201:202], v[72:73], -v[70:71]
	v_add_f64 v[203:204], v[78:79], -v[120:121]
	v_add_f64 v[148:149], v[148:149], v[12:13]
	v_fma_f64 v[205:206], v[191:192], s[20:21], v[152:153]
	v_fma_f64 v[152:153], v[191:192], s[8:9], v[152:153]
	v_add_f64 v[28:29], v[28:29], -v[32:33]
	v_add_f64 v[12:13], v[30:31], -v[12:13]
	v_fma_f64 v[30:31], v[197:198], s[8:9], v[16:17]
	v_fma_f64 v[195:196], v[158:159], s[20:21], v[46:47]
	;; [unrolled: 1-line block ×3, first 2 shown]
	v_add_f64 v[199:200], v[84:85], -v[68:69]
	v_add_f64 v[40:41], v[92:93], -v[94:95]
	v_add_f64 v[201:202], v[201:202], v[203:204]
	v_fma_f64 v[203:204], v[48:49], s[14:15], v[205:206]
	v_fma_f64 v[152:153], v[48:49], s[16:17], v[152:153]
	v_add_f64 v[12:13], v[28:29], v[12:13]
	v_fma_f64 v[28:29], v[158:159], s[16:17], v[30:31]
	v_fma_f64 v[4:5], v[48:49], s[20:21], v[4:5]
	;; [unrolled: 3-line block ×3, first 2 shown]
	v_fma_f64 v[32:33], v[193:194], s[8:9], v[0:1]
	v_fma_f64 v[16:17], v[197:198], s[20:21], v[16:17]
	;; [unrolled: 1-line block ×3, first 2 shown]
	v_add_f64 v[30:31], v[199:200], v[40:41]
	v_fma_f64 v[199:200], v[201:202], s[18:19], v[203:204]
	v_fma_f64 v[152:153], v[201:202], s[18:19], v[152:153]
	;; [unrolled: 1-line block ×5, first 2 shown]
	v_add_f64 v[22:23], v[22:23], v[92:93]
	v_fma_f64 v[156:157], v[38:39], s[18:19], v[156:157]
	v_mul_f64 v[195:196], v[189:190], s[16:17]
	v_fma_f64 v[16:17], v[158:159], s[14:15], v[16:17]
	v_fma_f64 v[32:33], v[154:155], s[16:17], v[32:33]
	;; [unrolled: 1-line block ×6, first 2 shown]
	v_add_f64 v[22:23], v[22:23], v[94:95]
	v_fma_f64 v[42:43], v[36:37], s[18:19], v[42:43]
	v_fma_f64 v[158:159], v[12:13], s[18:19], v[16:17]
	v_mul_f64 v[12:13], v[199:200], s[20:21]
	v_mul_f64 v[16:17], v[152:153], s[20:21]
	v_fma_f64 v[40:41], v[156:157], s[22:23], v[195:196]
	v_fma_f64 v[6:7], v[193:194], s[14:15], v[6:7]
	;; [unrolled: 1-line block ×3, first 2 shown]
	v_mul_f64 v[28:29], v[154:155], s[16:17]
	v_fma_f64 v[32:33], v[30:31], s[18:19], v[32:33]
	v_fma_f64 v[0:1], v[30:31], s[18:19], v[0:1]
	;; [unrolled: 1-line block ×4, first 2 shown]
	v_add_f64 v[16:17], v[22:23], v[148:149]
	v_add_f64 v[30:31], v[42:43], v[40:41]
	v_fma_f64 v[6:7], v[36:37], s[18:19], v[6:7]
	v_fma_f64 v[28:29], v[191:192], s[26:27], v[28:29]
	v_add_f64 v[36:37], v[52:53], v[116:117]
	v_mul_u32_u24_e32 v48, 0x2d0, v144
	v_lshlrev_b32_e32 v49, 3, v143
	v_add3_u32 v144, 0, v48, v49
	v_add_f64 v[38:39], v[32:33], v[4:5]
	v_add_f64 v[46:47], v[0:1], v[12:13]
	ds_write2_b64 v144, v[16:17], v[30:31] offset1:9
	v_add_f64 v[2:3], v[2:3], v[34:35]
	v_add_f64 v[16:17], v[22:23], -v[148:149]
	v_add_f64 v[34:35], v[6:7], v[28:29]
	v_add_f64 v[30:31], v[56:57], -v[118:119]
	v_fma_f64 v[118:119], v[36:37], -0.5, v[60:61]
	v_add_f64 v[36:37], v[42:43], -v[40:41]
	v_add_f64 v[4:5], v[32:33], -v[4:5]
	;; [unrolled: 1-line block ×4, first 2 shown]
	ds_write2_b64 v144, v[38:39], v[46:47] offset0:18 offset1:27
	ds_write2_b64 v144, v[34:35], v[16:17] offset0:36 offset1:45
	;; [unrolled: 1-line block ×4, first 2 shown]
	v_add_f64 v[0:1], v[114:115], v[44:45]
	v_add_f64 v[22:23], v[60:61], v[114:115]
	;; [unrolled: 1-line block ×3, first 2 shown]
	v_add_f64 v[26:27], v[114:115], -v[52:53]
	v_add_f64 v[38:39], v[44:45], -v[116:117]
	;; [unrolled: 1-line block ×3, first 2 shown]
	v_fma_f64 v[40:41], v[30:31], s[8:9], v[118:119]
	v_add_f64 v[16:17], v[52:53], -v[114:115]
	v_fma_f64 v[4:5], v[0:1], -0.5, v[60:61]
	v_add_f64 v[22:23], v[22:23], v[52:53]
	v_add_f64 v[2:3], v[2:3], v[24:25]
	v_mul_f64 v[12:13], v[20:21], s[22:23]
	v_add_f64 v[148:149], v[26:27], v[38:39]
	v_add_f64 v[26:27], v[116:117], -v[44:45]
	v_mul_f64 v[114:115], v[136:137], s[18:19]
	v_fma_f64 v[118:119], v[30:31], s[20:21], v[118:119]
	v_fma_f64 v[28:29], v[142:143], s[20:21], v[4:5]
	;; [unrolled: 1-line block ×3, first 2 shown]
	v_add_f64 v[20:21], v[22:23], v[116:117]
	v_fma_f64 v[22:23], v[142:143], s[14:15], v[40:41]
	v_mul_f64 v[116:117], v[138:139], s[24:25]
	v_add_f64 v[16:17], v[16:17], v[26:27]
	v_add_f64 v[193:194], v[2:3], v[18:19]
	v_fma_f64 v[195:196], v[10:11], s[14:15], v[12:13]
	v_fma_f64 v[26:27], v[30:31], s[14:15], v[28:29]
	;; [unrolled: 1-line block ×3, first 2 shown]
	v_add_f64 v[197:198], v[20:21], v[44:45]
	v_fma_f64 v[203:204], v[148:149], s[18:19], v[22:23]
	v_mul_f64 v[128:129], v[128:129], s[26:27]
	v_fma_f64 v[114:115], v[14:15], s[8:9], v[114:115]
	v_fma_f64 v[116:117], v[134:135], s[8:9], v[116:117]
	;; [unrolled: 1-line block ×5, first 2 shown]
	v_add_f64 v[134:135], v[197:198], v[193:194]
	v_add_f64 v[142:143], v[203:204], v[195:196]
	v_fma_f64 v[126:127], v[126:127], s[14:15], v[128:129]
	v_add_f64 v[128:129], v[86:87], v[88:89]
	s_waitcnt lgkmcnt(0)
	s_barrier
	v_add_f64 v[205:206], v[136:137], v[114:115]
	v_add_f64 v[207:208], v[138:139], v[116:117]
	ds_read2_b64 v[10:13], v169 offset1:108
	ds_read2_b64 v[0:3], v178 offset0:48 offset1:156
	ds_read2_b64 v[58:61], v171 offset0:56 offset1:164
	;; [unrolled: 1-line block ×14, first 2 shown]
	s_waitcnt lgkmcnt(0)
	s_barrier
	v_fma_f64 v[118:119], v[148:149], s[18:19], v[118:119]
	ds_write2_b64 v145, v[134:135], v[142:143] offset1:9
	ds_write2_b64 v145, v[205:206], v[207:208] offset0:18 offset1:27
	v_add_f64 v[134:135], v[80:81], v[90:91]
	v_add_f64 v[108:109], v[108:109], v[110:111]
	v_fma_f64 v[128:129], v[128:129], -0.5, v[62:63]
	v_add_f64 v[148:149], v[62:63], v[80:81]
	v_add_f64 v[100:101], v[100:101], -v[106:107]
	v_add_f64 v[102:103], v[102:103], -v[104:105]
	;; [unrolled: 1-line block ×3, first 2 shown]
	v_add_f64 v[110:111], v[118:119], v[126:127]
	v_fma_f64 v[62:63], v[134:135], -0.5, v[62:63]
	v_add_f64 v[104:105], v[108:109], v[112:113]
	v_add_f64 v[108:109], v[80:81], -v[86:87]
	v_add_f64 v[112:113], v[90:91], -v[88:89]
	v_add_f64 v[134:135], v[148:149], v[86:87]
	v_fma_f64 v[148:149], v[100:101], s[8:9], v[128:129]
	v_add_f64 v[80:81], v[86:87], -v[80:81]
	v_add_f64 v[86:87], v[88:89], -v[90:91]
	v_fma_f64 v[193:194], v[102:103], s[20:21], v[62:63]
	v_fma_f64 v[62:63], v[102:103], s[8:9], v[62:63]
	v_add_f64 v[96:97], v[104:105], v[96:97]
	v_add_f64 v[104:105], v[108:109], v[112:113]
	v_mul_f64 v[108:109], v[122:123], s[22:23]
	v_add_f64 v[88:89], v[134:135], v[88:89]
	v_fma_f64 v[112:113], v[102:103], s[14:15], v[148:149]
	v_add_f64 v[80:81], v[80:81], v[86:87]
	v_fma_f64 v[86:87], v[100:101], s[14:15], v[193:194]
	v_fma_f64 v[62:63], v[100:101], s[16:17], v[62:63]
	v_mul_f64 v[122:123], v[160:161], s[18:19]
	v_add_f64 v[96:97], v[96:97], v[98:99]
	v_fma_f64 v[98:99], v[124:125], s[14:15], v[108:109]
	v_add_f64 v[88:89], v[88:89], v[90:91]
	v_fma_f64 v[90:91], v[104:105], s[18:19], v[112:113]
	v_fma_f64 v[100:101], v[100:101], s[20:21], v[128:129]
	v_add_f64 v[106:107], v[203:204], -v[195:196]
	v_add_f64 v[112:113], v[136:137], -v[114:115]
	;; [unrolled: 1-line block ×4, first 2 shown]
	v_fma_f64 v[86:87], v[80:81], s[18:19], v[86:87]
	v_fma_f64 v[62:63], v[80:81], s[18:19], v[62:63]
	;; [unrolled: 1-line block ×3, first 2 shown]
	v_add_f64 v[118:119], v[88:89], v[96:97]
	v_add_f64 v[122:123], v[90:91], v[98:99]
	v_fma_f64 v[100:101], v[102:103], s[16:17], v[100:101]
	ds_write2_b64 v145, v[110:111], v[142:143] offset0:36 offset1:45
	ds_write2_b64 v145, v[106:107], v[112:113] offset0:54 offset1:63
	;; [unrolled: 1-line block ×3, first 2 shown]
	ds_write2_b64 v141, v[118:119], v[122:123] offset1:9
	v_add_f64 v[106:107], v[74:75], v[76:77]
	v_add_f64 v[124:125], v[86:87], v[80:81]
	v_add_f64 v[88:89], v[88:89], -v[96:97]
	v_fma_f64 v[100:101], v[104:105], s[18:19], v[100:101]
	v_add_f64 v[104:105], v[66:67], v[82:83]
	v_add_f64 v[80:81], v[86:87], -v[80:81]
	v_add_f64 v[96:97], v[8:9], v[66:67]
	v_add_f64 v[68:69], v[68:69], -v[94:95]
	v_fma_f64 v[86:87], v[106:107], -0.5, v[8:9]
	v_add_f64 v[64:65], v[64:65], v[70:71]
	v_add_f64 v[84:85], v[84:85], -v[92:93]
	v_add_f64 v[92:93], v[66:67], -v[74:75]
	v_fma_f64 v[8:9], v[104:105], -0.5, v[8:9]
	v_add_f64 v[94:95], v[82:83], -v[76:77]
	v_add_f64 v[70:71], v[96:97], v[74:75]
	v_add_f64 v[90:91], v[90:91], -v[98:99]
	v_fma_f64 v[96:97], v[68:69], s[8:9], v[86:87]
	v_add_f64 v[64:65], v[64:65], v[72:73]
	v_fma_f64 v[86:87], v[68:69], s[20:21], v[86:87]
	v_add_f64 v[66:67], v[74:75], -v[66:67]
	v_add_f64 v[74:75], v[76:77], -v[82:83]
	v_fma_f64 v[98:99], v[84:85], s[20:21], v[8:9]
	v_fma_f64 v[8:9], v[84:85], s[8:9], v[8:9]
	v_add_f64 v[72:73], v[92:93], v[94:95]
	v_fma_f64 v[92:93], v[84:85], s[14:15], v[96:97]
	v_add_f64 v[70:71], v[70:71], v[76:77]
	v_mul_f64 v[134:135], v[162:163], s[24:25]
	v_mul_f64 v[102:103], v[132:133], s[26:27]
	v_add_f64 v[64:65], v[64:65], v[78:79]
	v_mul_f64 v[78:79], v[189:190], s[22:23]
	v_fma_f64 v[84:85], v[84:85], s[16:17], v[86:87]
	v_add_f64 v[66:67], v[66:67], v[74:75]
	v_fma_f64 v[74:75], v[68:69], s[14:15], v[98:99]
	v_fma_f64 v[8:9], v[68:69], s[16:17], v[8:9]
	v_add_f64 v[70:71], v[70:71], v[82:83]
	v_mul_f64 v[82:83], v[199:200], s[18:19]
	v_fma_f64 v[86:87], v[72:73], s[18:19], v[92:93]
	v_mul_f64 v[92:93], v[152:153], s[24:25]
	v_mul_f64 v[94:95], v[154:155], s[26:27]
	v_fma_f64 v[108:109], v[150:151], s[8:9], v[134:135]
	v_fma_f64 v[102:103], v[130:131], s[14:15], v[102:103]
	v_add_f64 v[64:65], v[64:65], v[120:121]
	v_fma_f64 v[78:79], v[156:157], s[14:15], v[78:79]
	v_fma_f64 v[74:75], v[66:67], s[18:19], v[74:75]
	;; [unrolled: 1-line block ×7, first 2 shown]
	v_add_f64 v[126:127], v[62:63], v[108:109]
	v_add_f64 v[68:69], v[100:101], v[102:103]
	v_add_f64 v[62:63], v[62:63], -v[108:109]
	v_add_f64 v[76:77], v[100:101], -v[102:103]
	v_add_f64 v[92:93], v[70:71], v[64:65]
	v_add_f64 v[64:65], v[70:71], -v[64:65]
	v_add_f64 v[70:71], v[86:87], v[78:79]
	;; [unrolled: 2-line block ×4, first 2 shown]
	v_add_f64 v[94:95], v[72:73], v[84:85]
	v_add_f64 v[8:9], v[8:9], -v[66:67]
	v_add_f64 v[66:67], v[72:73], -v[84:85]
	s_movk_i32 s8, 0x5a
	ds_write2_b64 v141, v[124:125], v[126:127] offset0:18 offset1:27
	ds_write2_b64 v141, v[68:69], v[88:89] offset0:36 offset1:45
	;; [unrolled: 1-line block ×4, first 2 shown]
	ds_write2_b64 v144, v[92:93], v[70:71] offset1:9
	ds_write2_b64 v144, v[86:87], v[82:83] offset0:18 offset1:27
	ds_write2_b64 v144, v[94:95], v[64:65] offset0:36 offset1:45
	ds_write2_b64 v144, v[78:79], v[74:75] offset0:54 offset1:63
	ds_write2_b64 v144, v[8:9], v[66:67] offset0:72 offset1:81
	v_add_u32_e32 v8, 0xffffffa6, v168
	v_cmp_gt_u32_e32 vcc, s8, v168
	v_cndmask_b32_e32 v68, v8, v168, vcc
	v_mul_i32_i24_e32 v100, 5, v68
	v_mov_b32_e32 v101, 0
	v_lshlrev_b64 v[8:9], 4, v[100:101]
	v_mov_b32_e32 v62, s13
	v_add_co_u32_e32 v92, vcc, s12, v8
	v_addc_co_u32_e32 v93, vcc, v62, v9, vcc
	s_movk_i32 s8, 0xb7
	s_waitcnt lgkmcnt(0)
	s_barrier
	global_load_dwordx4 v[62:65], v[92:93], off offset:1408
	v_mul_lo_u16_sdwa v8, v188, s8 dst_sel:DWORD dst_unused:UNUSED_PAD src0_sel:BYTE_0 src1_sel:DWORD
	v_lshrrev_b16_e32 v66, 14, v8
	v_mul_lo_u16_e32 v8, 0x5a, v66
	v_sub_u16_e32 v67, v188, v8
	v_mul_u32_u24_sdwa v8, v67, v186 dst_sel:DWORD dst_unused:UNUSED_PAD src0_sel:BYTE_0 src1_sel:DWORD
	v_lshlrev_b32_e32 v8, 4, v8
	global_load_dwordx4 v[72:75], v8, s[12:13] offset:1408
	global_load_dwordx4 v[76:79], v[92:93], off offset:1440
	global_load_dwordx4 v[80:83], v8, s[12:13] offset:1440
	global_load_dwordx4 v[84:87], v8, s[12:13] offset:1392
	s_movk_i32 s8, 0x2d83
	v_mul_u32_u24_sdwa v9, v187, s8 dst_sel:DWORD dst_unused:UNUSED_PAD src0_sel:WORD_0 src1_sel:DWORD
	v_lshrrev_b32_e32 v69, 20, v9
	v_mul_lo_u16_e32 v9, 0x5a, v69
	v_sub_u16_e32 v70, v187, v9
	v_mul_u32_u24_e32 v9, 5, v70
	v_lshlrev_b32_e32 v9, 4, v9
	global_load_dwordx4 v[88:91], v9, s[12:13] offset:1392
	global_load_dwordx4 v[96:99], v8, s[12:13] offset:1424
	;; [unrolled: 1-line block ×6, first 2 shown]
	v_mul_u32_u24_sdwa v8, v185, s8 dst_sel:DWORD dst_unused:UNUSED_PAD src0_sel:WORD_0 src1_sel:DWORD
	v_lshrrev_b32_e32 v120, 20, v8
	v_mul_lo_u16_e32 v8, 0x5a, v120
	v_sub_u16_e32 v121, v185, v8
	v_mul_u32_u24_e32 v8, 5, v121
	v_lshlrev_b32_e32 v138, 4, v8
	v_mul_u32_u24_sdwa v8, v184, s8 dst_sel:DWORD dst_unused:UNUSED_PAD src0_sel:WORD_0 src1_sel:DWORD
	global_load_dwordx4 v[130:133], v138, s[12:13] offset:1408
	global_load_dwordx4 v[134:137], v9, s[12:13] offset:1440
	;; [unrolled: 1-line block ×4, first 2 shown]
	v_lshrrev_b32_e32 v71, 20, v8
	v_mul_lo_u16_e32 v8, 0x5a, v71
	v_sub_u16_e32 v100, v184, v8
	v_mul_u32_u24_e32 v8, 5, v100
	v_lshlrev_b32_e32 v161, 4, v8
	global_load_dwordx4 v[149:152], v161, s[12:13] offset:1392
	ds_read2_b64 v[102:105], v171 offset0:56 offset1:164
	global_load_dwordx4 v[153:156], v[92:93], off offset:1424
	global_load_dwordx4 v[157:160], v[92:93], off offset:1392
	global_load_dwordx4 v[185:188], v161, s[12:13] offset:1408
	global_load_dwordx4 v[193:196], v161, s[12:13] offset:1424
	;; [unrolled: 1-line block ×4, first 2 shown]
	global_load_dwordx4 v[197:200], v[92:93], off offset:1456
	ds_read2_b64 v[106:109], v170 offset0:112 offset1:220
	global_load_dwordx4 v[201:204], v161, s[12:13] offset:1440
	s_movk_i32 s8, 0x59
	v_cmp_lt_u32_e32 vcc, s8, v168
	v_lshlrev_b32_e32 v68, 3, v68
	s_movk_i32 s9, 0x2000
	s_movk_i32 s8, 0x4000
	s_waitcnt vmcnt(23) lgkmcnt(1)
	v_mul_f64 v[8:9], v[102:103], v[64:65]
	v_mul_f64 v[64:65], v[58:59], v[64:65]
	s_waitcnt vmcnt(22)
	v_mul_f64 v[94:95], v[104:105], v[74:75]
	s_waitcnt vmcnt(21) lgkmcnt(0)
	v_mul_f64 v[110:111], v[106:107], v[78:79]
	v_mul_f64 v[74:75], v[60:61], v[74:75]
	v_fma_f64 v[8:9], v[58:59], v[62:63], v[8:9]
	v_fma_f64 v[58:59], v[102:103], v[62:63], -v[64:65]
	v_mul_f64 v[64:65], v[54:55], v[78:79]
	s_waitcnt vmcnt(20)
	v_mul_f64 v[78:79], v[108:109], v[82:83]
	v_fma_f64 v[94:95], v[60:61], v[72:73], v[94:95]
	ds_read2_b64 v[60:63], v173 offset0:136 offset1:244
	v_fma_f64 v[54:55], v[54:55], v[76:77], v[110:111]
	v_mul_f64 v[82:83], v[56:57], v[82:83]
	v_fma_f64 v[104:105], v[104:105], v[72:73], -v[74:75]
	ds_read2_b64 v[72:75], v174 offset0:64 offset1:172
	s_waitcnt vmcnt(19) lgkmcnt(1)
	v_mul_f64 v[92:93], v[60:61], v[86:87]
	v_fma_f64 v[64:65], v[106:107], v[76:77], -v[64:65]
	v_mul_f64 v[76:77], v[50:51], v[86:87]
	s_waitcnt vmcnt(18)
	v_mul_f64 v[86:87], v[62:63], v[90:91]
	v_mul_f64 v[90:91], v[52:53], v[90:91]
	v_fma_f64 v[102:103], v[56:57], v[80:81], v[78:79]
	s_waitcnt vmcnt(17) lgkmcnt(0)
	v_mul_f64 v[78:79], v[72:73], v[98:99]
	v_fma_f64 v[106:107], v[108:109], v[80:81], -v[82:83]
	v_fma_f64 v[56:57], v[50:51], v[84:85], v[92:93]
	ds_read2_b64 v[80:83], v176 offset0:16 offset1:124
	v_fma_f64 v[110:111], v[60:61], v[84:85], -v[76:77]
	v_fma_f64 v[138:139], v[52:53], v[88:89], v[86:87]
	global_load_dwordx4 v[50:53], v161, s[12:13] offset:1456
	v_fma_f64 v[90:91], v[62:63], v[88:89], -v[90:91]
	ds_read2_b64 v[60:63], v172 offset0:120 offset1:228
	v_mul_f64 v[76:77], v[46:47], v[98:99]
	v_fma_f64 v[161:162], v[46:47], v[96:97], v[78:79]
	s_waitcnt vmcnt(17)
	v_mul_f64 v[46:47], v[74:75], v[114:115]
	v_mul_f64 v[78:79], v[48:49], v[114:115]
	s_waitcnt vmcnt(16) lgkmcnt(0)
	v_mul_f64 v[84:85], v[60:61], v[118:119]
	s_waitcnt vmcnt(15)
	v_mul_f64 v[88:89], v[62:63], v[124:125]
	v_mul_f64 v[86:87], v[42:43], v[118:119]
	;; [unrolled: 1-line block ×3, first 2 shown]
	v_fma_f64 v[114:115], v[72:73], v[96:97], -v[76:77]
	s_waitcnt vmcnt(13)
	v_mul_f64 v[72:73], v[40:41], v[132:133]
	v_fma_f64 v[209:210], v[48:49], v[112:113], v[46:47]
	v_mul_f64 v[46:47], v[80:81], v[128:129]
	v_fma_f64 v[211:212], v[42:43], v[116:117], v[84:85]
	v_fma_f64 v[213:214], v[44:45], v[122:123], v[88:89]
	ds_read2_b64 v[42:45], v177 offset0:72 offset1:180
	v_fma_f64 v[92:93], v[74:75], v[112:113], -v[78:79]
	v_fma_f64 v[112:113], v[60:61], v[116:117], -v[86:87]
	;; [unrolled: 1-line block ×3, first 2 shown]
	v_mul_f64 v[60:61], v[38:39], v[128:129]
	v_mul_f64 v[62:63], v[82:83], v[132:133]
	v_fma_f64 v[96:97], v[38:39], v[126:127], v[46:47]
	s_waitcnt vmcnt(12) lgkmcnt(0)
	v_mul_f64 v[38:39], v[42:43], v[136:137]
	v_mul_f64 v[74:75], v[34:35], v[136:137]
	s_waitcnt vmcnt(11)
	v_mul_f64 v[76:77], v[44:45], v[143:144]
	ds_read2_b64 v[46:49], v181 offset0:96 offset1:204
	s_waitcnt vmcnt(8)
	v_mul_f64 v[86:87], v[24:25], v[155:156]
	v_fma_f64 v[98:99], v[80:81], v[126:127], -v[60:61]
	v_fma_f64 v[60:61], v[40:41], v[130:131], v[62:63]
	v_fma_f64 v[62:63], v[82:83], v[130:131], -v[72:73]
	v_mul_f64 v[40:41], v[36:37], v[143:144]
	s_waitcnt lgkmcnt(0)
	v_mul_f64 v[72:73], v[46:47], v[147:148]
	v_mul_f64 v[84:85], v[48:49], v[151:152]
	v_fma_f64 v[108:109], v[34:35], v[134:135], v[38:39]
	v_fma_f64 v[88:89], v[42:43], v[134:135], -v[74:75]
	v_fma_f64 v[74:75], v[36:37], v[141:142], v[76:77]
	v_mul_f64 v[42:43], v[30:31], v[147:148]
	ds_read2_b64 v[36:39], v179 offset0:104 offset1:212
	v_fma_f64 v[44:45], v[44:45], v[141:142], -v[40:41]
	v_fma_f64 v[34:35], v[30:31], v[145:146], v[72:73]
	v_mul_f64 v[40:41], v[32:33], v[151:152]
	v_fma_f64 v[30:31], v[32:33], v[149:150], v[84:85]
	s_waitcnt lgkmcnt(0)
	v_mul_f64 v[72:73], v[38:39], v[155:156]
	s_waitcnt vmcnt(6)
	v_mul_f64 v[32:33], v[36:37], v[187:188]
	ds_read2_b64 v[80:83], v182 offset0:24 offset1:132
	v_fma_f64 v[76:77], v[46:47], v[145:146], -v[42:43]
	v_mul_f64 v[42:43], v[22:23], v[187:188]
	v_mul_f64 v[126:127], v[2:3], v[159:160]
	v_fma_f64 v[46:47], v[48:49], v[149:150], -v[40:41]
	s_waitcnt vmcnt(4) lgkmcnt(0)
	v_mul_f64 v[116:117], v[80:81], v[191:192]
	v_fma_f64 v[48:49], v[24:25], v[153:154], v[72:73]
	v_mul_f64 v[118:119], v[82:83], v[195:196]
	v_fma_f64 v[72:73], v[22:23], v[185:186], v[32:33]
	s_waitcnt vmcnt(2)
	v_mul_f64 v[22:23], v[20:21], v[199:200]
	v_fma_f64 v[24:25], v[38:39], v[153:154], -v[86:87]
	v_mul_f64 v[40:41], v[26:27], v[191:192]
	v_fma_f64 v[84:85], v[36:37], v[185:186], -v[42:43]
	ds_read2_b64 v[36:39], v180 offset0:32 offset1:140
	v_fma_f64 v[32:33], v[26:27], v[189:190], v[116:117]
	v_mul_f64 v[116:117], v[28:29], v[195:196]
	v_fma_f64 v[26:27], v[28:29], v[193:194], v[118:119]
	ds_read2_b64 v[122:125], v183 offset0:80 offset1:188
	s_waitcnt lgkmcnt(1)
	v_mul_f64 v[28:29], v[38:39], v[199:200]
	s_waitcnt vmcnt(1)
	v_mul_f64 v[118:119], v[36:37], v[203:204]
	v_fma_f64 v[22:23], v[38:39], v[197:198], -v[22:23]
	v_fma_f64 v[86:87], v[80:81], v[189:190], -v[40:41]
	ds_read2_b64 v[40:43], v178 offset0:48 offset1:156
	v_fma_f64 v[80:81], v[82:83], v[193:194], -v[116:117]
	v_mul_f64 v[38:39], v[18:19], v[203:204]
	v_add_f64 v[130:131], v[58:59], -v[64:65]
	v_fma_f64 v[20:21], v[20:21], v[197:198], v[28:29]
	s_waitcnt lgkmcnt(0)
	v_mul_f64 v[116:117], v[42:43], v[159:160]
	v_fma_f64 v[82:83], v[18:19], v[201:202], v[118:119]
	v_fma_f64 v[18:19], v[42:43], v[157:158], -v[126:127]
	v_add_f64 v[28:29], v[24:25], v[22:23]
	v_mul_f64 v[118:119], v[122:123], v[207:208]
	v_fma_f64 v[42:43], v[36:37], v[201:202], -v[38:39]
	v_mul_f64 v[36:37], v[14:15], v[207:208]
	s_waitcnt vmcnt(0)
	v_mul_f64 v[38:39], v[124:125], v[52:53]
	v_fma_f64 v[2:3], v[2:3], v[157:158], v[116:117]
	v_add_f64 v[116:117], v[48:49], v[20:21]
	v_add_f64 v[126:127], v[48:49], -v[20:21]
	v_fma_f64 v[28:29], v[28:29], -0.5, v[18:19]
	v_fma_f64 v[14:15], v[14:15], v[205:206], v[118:119]
	v_mul_f64 v[52:53], v[16:17], v[52:53]
	v_fma_f64 v[118:119], v[122:123], v[205:206], -v[36:37]
	v_fma_f64 v[16:17], v[16:17], v[50:51], v[38:39]
	v_add_f64 v[48:49], v[2:3], v[48:49]
	v_fma_f64 v[2:3], v[116:117], -0.5, v[2:3]
	v_add_f64 v[36:37], v[24:25], -v[22:23]
	v_fma_f64 v[38:39], v[126:127], s[4:5], v[28:29]
	v_add_f64 v[122:123], v[8:9], v[54:55]
	v_fma_f64 v[116:117], v[124:125], v[50:51], -v[52:53]
	v_fma_f64 v[132:133], v[126:127], s[2:3], v[28:29]
	v_add_f64 v[136:137], v[114:115], v[112:113]
	v_add_f64 v[20:21], v[48:49], v[20:21]
	;; [unrolled: 1-line block ×3, first 2 shown]
	v_fma_f64 v[50:51], v[36:37], s[2:3], v[2:3]
	v_mul_f64 v[52:53], v[38:39], s[2:3]
	v_fma_f64 v[10:11], v[122:123], -0.5, v[10:11]
	v_fma_f64 v[141:142], v[36:37], s[4:5], v[2:3]
	v_mul_f64 v[2:3], v[132:133], s[2:3]
	v_add_f64 v[143:144], v[161:162], v[211:212]
	v_add_f64 v[145:146], v[161:162], -v[211:212]
	v_add_f64 v[48:49], v[48:49], v[54:55]
	v_fma_f64 v[136:137], v[136:137], -0.5, v[110:111]
	v_fma_f64 v[52:53], v[50:51], 0.5, v[52:53]
	v_fma_f64 v[28:29], v[130:131], s[2:3], v[10:11]
	v_mov_b32_e32 v124, 0x10e0
	v_cndmask_b32_e32 v122, 0, v124, vcc
	v_add3_u32 v163, 0, v122, v68
	ds_read2_b64 v[122:125], v169 offset1:108
	ds_read2_b64 v[126:129], v175 offset0:88 offset1:196
	v_add_f64 v[134:135], v[48:49], v[20:21]
	s_waitcnt lgkmcnt(0)
	s_barrier
	v_add_f64 v[36:37], v[28:29], v[52:53]
	v_fma_f64 v[10:11], v[130:131], s[4:5], v[10:11]
	v_fma_f64 v[2:3], v[141:142], -0.5, v[2:3]
	v_add_f64 v[20:21], v[48:49], -v[20:21]
	v_add_f64 v[48:49], v[114:115], -v[112:113]
	v_fma_f64 v[130:131], v[145:146], s[4:5], v[136:137]
	v_add_f64 v[28:29], v[28:29], -v[52:53]
	ds_write2_b64 v163, v[134:135], v[36:37] offset1:90
	v_fma_f64 v[36:37], v[143:144], -0.5, v[56:57]
	v_add_f64 v[134:135], v[94:95], v[102:103]
	v_add_f64 v[143:144], v[10:11], v[2:3]
	v_add_f64 v[2:3], v[10:11], -v[2:3]
	v_add_f64 v[10:11], v[12:13], v[94:95]
	v_add_f64 v[52:53], v[56:57], v[161:162]
	v_mul_f64 v[56:57], v[130:131], s[2:3]
	v_add_u32_e32 v199, 0x400, v163
	v_fma_f64 v[147:148], v[48:49], s[2:3], v[36:37]
	v_fma_f64 v[12:13], v[134:135], -0.5, v[12:13]
	v_add_f64 v[134:135], v[104:105], -v[106:107]
	v_add_u32_e32 v200, 0x800, v163
	ds_write2_b64 v199, v[143:144], v[20:21] offset0:52 offset1:142
	ds_write2_b64 v200, v[28:29], v[2:3] offset0:104 offset1:194
	v_add_f64 v[2:3], v[52:53], v[211:212]
	v_add_f64 v[10:11], v[10:11], v[102:103]
	v_fma_f64 v[20:21], v[147:148], 0.5, v[56:57]
	v_add_f64 v[28:29], v[92:93], v[78:79]
	v_fma_f64 v[52:53], v[134:135], s[2:3], v[12:13]
	v_fma_f64 v[136:137], v[145:146], s[2:3], v[136:137]
	v_lshlrev_b32_sdwa v68, v140, v67 dst_sel:DWORD dst_unused:UNUSED_PAD src0_sel:DWORD src1_sel:BYTE_0
	v_mul_u32_u24_e32 v140, 0x10e0, v66
	v_add_f64 v[56:57], v[209:210], v[213:214]
	v_add_f64 v[66:67], v[10:11], v[2:3]
	v_add_f64 v[143:144], v[209:210], -v[213:214]
	v_fma_f64 v[28:29], v[28:29], -0.5, v[90:91]
	v_add_f64 v[145:146], v[52:53], v[20:21]
	v_fma_f64 v[149:150], v[48:49], s[4:5], v[36:37]
	v_mul_f64 v[36:37], v[136:137], s[2:3]
	v_add3_u32 v201, 0, v140, v68
	v_fma_f64 v[48:49], v[56:57], -0.5, v[138:139]
	v_add_f64 v[56:57], v[96:97], v[108:109]
	v_add_f64 v[151:152], v[92:93], -v[78:79]
	v_fma_f64 v[153:154], v[143:144], s[4:5], v[28:29]
	ds_write2_b64 v201, v[66:67], v[145:146] offset1:90
	v_fma_f64 v[12:13], v[134:135], s[4:5], v[12:13]
	v_fma_f64 v[36:37], v[149:150], -0.5, v[36:37]
	v_add_f64 v[66:67], v[138:139], v[209:210]
	v_add_f64 v[134:135], v[4:5], v[96:97]
	v_fma_f64 v[4:5], v[56:57], -0.5, v[4:5]
	v_fma_f64 v[138:139], v[151:152], s[2:3], v[48:49]
	v_mul_f64 v[56:57], v[153:154], s[2:3]
	v_add_f64 v[145:146], v[98:99], -v[88:89]
	v_add_f64 v[2:3], v[10:11], -v[2:3]
	v_add_f64 v[10:11], v[12:13], v[36:37]
	v_add_f64 v[20:21], v[52:53], -v[20:21]
	v_add_f64 v[52:53], v[66:67], v[213:214]
	v_add_f64 v[66:67], v[134:135], v[108:109]
	v_fma_f64 v[134:135], v[143:144], s[2:3], v[28:29]
	v_add_u32_e32 v202, 0x400, v201
	v_fma_f64 v[28:29], v[138:139], 0.5, v[56:57]
	v_fma_f64 v[56:57], v[145:146], s[2:3], v[4:5]
	ds_write2_b64 v202, v[10:11], v[2:3] offset0:52 offset1:142
	v_fma_f64 v[143:144], v[151:152], s[4:5], v[48:49]
	v_add_f64 v[12:13], v[12:13], -v[36:37]
	v_add_f64 v[10:11], v[66:67], v[52:53]
	v_mul_f64 v[2:3], v[134:135], s[2:3]
	v_fma_f64 v[4:5], v[145:146], s[4:5], v[4:5]
	v_add_u32_e32 v203, 0x800, v201
	v_add_f64 v[36:37], v[56:57], v[28:29]
	v_add_f64 v[28:29], v[56:57], -v[28:29]
	v_add_f64 v[189:190], v[8:9], -v[54:55]
	ds_write2_b64 v203, v[20:21], v[12:13] offset0:104 offset1:194
	v_mul_u32_u24_e32 v20, 0x10e0, v69
	v_fma_f64 v[2:3], v[143:144], -0.5, v[2:3]
	v_lshlrev_b32_e32 v21, 3, v70
	v_add3_u32 v204, 0, v20, v21
	v_add_f64 v[12:13], v[86:87], v[118:119]
	ds_write2_b64 v204, v[10:11], v[36:37] offset1:90
	v_add_f64 v[20:21], v[32:33], v[14:15]
	v_add_f64 v[36:37], v[32:33], -v[14:15]
	v_add_f64 v[32:33], v[34:35], v[32:33]
	v_add_f64 v[48:49], v[4:5], v[2:3]
	v_add_f64 v[2:3], v[4:5], -v[2:3]
	v_add_f64 v[4:5], v[60:61], v[74:75]
	v_add_u32_e32 v206, 0x800, v204
	v_fma_f64 v[12:13], v[12:13], -0.5, v[76:77]
	v_fma_f64 v[20:21], v[20:21], -0.5, v[34:35]
	v_add_f64 v[34:35], v[86:87], -v[118:119]
	v_add_f64 v[10:11], v[66:67], -v[52:53]
	;; [unrolled: 1-line block ×3, first 2 shown]
	ds_write2_b64 v206, v[28:29], v[2:3] offset0:104 offset1:194
	v_fma_f64 v[2:3], v[4:5], -0.5, v[6:7]
	v_add_f64 v[4:5], v[6:7], v[60:61]
	v_add_f64 v[6:7], v[32:33], v[14:15]
	;; [unrolled: 1-line block ×3, first 2 shown]
	v_mul_u32_u24_e32 v32, 0x10e0, v120
	v_lshlrev_b32_e32 v33, 3, v121
	v_fma_f64 v[145:146], v[36:37], s[4:5], v[12:13]
	v_add3_u32 v207, 0, v32, v33
	v_fma_f64 v[120:121], v[36:37], s[2:3], v[12:13]
	v_add_f64 v[12:13], v[26:27], v[16:17]
	v_add_f64 v[32:33], v[26:27], -v[16:17]
	v_fma_f64 v[14:15], v[14:15], -0.5, v[46:47]
	v_fma_f64 v[151:152], v[34:35], s[2:3], v[20:21]
	v_add_f64 v[28:29], v[62:63], -v[44:45]
	v_fma_f64 v[155:156], v[34:35], s[4:5], v[20:21]
	v_add_f64 v[34:35], v[72:73], v[82:83]
	v_mul_f64 v[20:21], v[120:121], s[2:3]
	v_fma_f64 v[12:13], v[12:13], -0.5, v[30:31]
	v_add_u32_e32 v205, 0x400, v204
	v_fma_f64 v[157:158], v[32:33], s[4:5], v[14:15]
	ds_write2_b64 v205, v[48:49], v[10:11] offset0:52 offset1:142
	v_mul_f64 v[10:11], v[145:146], s[2:3]
	v_add_f64 v[4:5], v[4:5], v[74:75]
	v_fma_f64 v[36:37], v[28:29], s[2:3], v[2:3]
	v_fma_f64 v[2:3], v[28:29], s[4:5], v[2:3]
	v_fma_f64 v[20:21], v[155:156], -0.5, v[20:21]
	v_fma_f64 v[28:29], v[34:35], -0.5, v[0:1]
	v_add_f64 v[0:1], v[0:1], v[72:73]
	v_add_f64 v[26:27], v[30:31], v[26:27]
	v_fma_f64 v[159:160], v[52:53], s[2:3], v[12:13]
	v_mul_f64 v[30:31], v[157:158], s[2:3]
	v_add_f64 v[34:35], v[84:85], -v[42:43]
	v_fma_f64 v[10:11], v[151:152], 0.5, v[10:11]
	v_add_f64 v[48:49], v[4:5], v[6:7]
	v_fma_f64 v[161:162], v[32:33], s[2:3], v[14:15]
	v_add_f64 v[4:5], v[4:5], -v[6:7]
	v_add_f64 v[6:7], v[2:3], v[20:21]
	v_add_f64 v[14:15], v[26:27], v[16:17]
	;; [unrolled: 1-line block ×3, first 2 shown]
	v_fma_f64 v[16:17], v[159:160], 0.5, v[30:31]
	v_fma_f64 v[26:27], v[34:35], s[2:3], v[28:29]
	v_add_f64 v[56:57], v[36:37], v[10:11]
	v_add_f64 v[10:11], v[36:37], -v[10:11]
	v_add_f64 v[2:3], v[2:3], -v[20:21]
	v_add_u32_e32 v208, 0x400, v207
	v_fma_f64 v[185:186], v[52:53], s[4:5], v[12:13]
	v_mul_f64 v[12:13], v[161:162], s[2:3]
	ds_write2_b64 v208, v[6:7], v[4:5] offset0:52 offset1:142
	v_add_f64 v[4:5], v[0:1], v[14:15]
	v_add_f64 v[6:7], v[26:27], v[16:17]
	v_add_u32_e32 v209, 0x800, v207
	ds_write2_b64 v209, v[10:11], v[2:3] offset0:104 offset1:194
	v_mul_u32_u24_e32 v2, 0x10e0, v71
	v_lshlrev_b32_e32 v3, 3, v100
	v_add3_u32 v100, 0, v2, v3
	ds_write2_b64 v207, v[48:49], v[56:57] offset1:90
	v_fma_f64 v[20:21], v[34:35], s[4:5], v[28:29]
	v_fma_f64 v[12:13], v[185:186], -0.5, v[12:13]
	ds_write2_b64 v100, v[4:5], v[6:7] offset1:90
	v_add_f64 v[4:5], v[26:27], -v[16:17]
	v_add_f64 v[16:17], v[58:59], v[64:65]
	v_add_f64 v[0:1], v[0:1], -v[14:15]
	v_add_f64 v[10:11], v[122:123], v[58:59]
	v_mul_f64 v[14:15], v[38:39], 0.5
	v_mul_f64 v[132:133], v[132:133], -0.5
	v_add_f64 v[2:3], v[20:21], v[12:13]
	v_add_f64 v[6:7], v[20:21], -v[12:13]
	v_add_f64 v[12:13], v[18:19], v[24:25]
	v_fma_f64 v[122:123], v[16:17], -0.5, v[122:123]
	v_add_f64 v[110:111], v[110:111], v[114:115]
	v_add_f64 v[187:188], v[10:11], v[64:65]
	v_fma_f64 v[193:194], v[50:51], s[4:5], v[14:15]
	v_fma_f64 v[132:133], v[141:142], s[4:5], v[132:133]
	v_add_f64 v[140:141], v[104:105], v[106:107]
	v_add_u32_e32 v210, 0x400, v100
	v_add_f64 v[191:192], v[12:13], v[22:23]
	v_fma_f64 v[195:196], v[189:190], s[4:5], v[122:123]
	v_fma_f64 v[122:123], v[189:190], s[2:3], v[122:123]
	v_add_u32_e32 v211, 0x800, v100
	ds_write2_b64 v210, v[2:3], v[0:1] offset0:52 offset1:142
	ds_write2_b64 v211, v[4:5], v[6:7] offset0:104 offset1:194
	s_waitcnt lgkmcnt(0)
	s_barrier
	v_add_f64 v[189:190], v[187:188], v[191:192]
	v_add_f64 v[197:198], v[195:196], v[193:194]
	v_add_f64 v[114:115], v[187:188], -v[191:192]
	v_add_f64 v[187:188], v[122:123], v[132:133]
	ds_read2_b64 v[0:3], v169 offset1:108
	ds_read2_b64 v[12:15], v178 offset0:48 offset1:156
	ds_read2_b64 v[4:7], v171 offset0:56 offset1:164
	;; [unrolled: 1-line block ×14, first 2 shown]
	s_waitcnt lgkmcnt(0)
	s_barrier
	ds_write2_b64 v163, v[189:190], v[197:198] offset1:90
	ds_write2_b64 v199, v[187:188], v[114:115] offset0:52 offset1:142
	v_add_f64 v[114:115], v[98:99], v[88:89]
	v_add_f64 v[104:105], v[124:125], v[104:105]
	v_fma_f64 v[124:125], v[140:141], -0.5, v[124:125]
	v_mul_f64 v[130:131], v[130:131], 0.5
	v_add_f64 v[94:95], v[94:95], -v[102:103]
	v_add_f64 v[102:103], v[110:111], v[112:113]
	v_add_f64 v[110:111], v[122:123], -v[132:133]
	v_mul_f64 v[132:133], v[136:137], -0.5
	v_add_f64 v[96:97], v[96:97], -v[108:109]
	v_add_f64 v[98:99], v[126:127], v[98:99]
	v_add_f64 v[90:91], v[90:91], v[92:93]
	v_mul_f64 v[92:93], v[153:154], 0.5
	v_fma_f64 v[108:109], v[114:115], -0.5, v[126:127]
	v_mul_f64 v[126:127], v[134:135], -0.5
	v_add_f64 v[104:105], v[104:105], v[106:107]
	v_fma_f64 v[112:113], v[147:148], s[4:5], v[130:131]
	v_fma_f64 v[122:123], v[94:95], s[4:5], v[124:125]
	;; [unrolled: 1-line block ×4, first 2 shown]
	v_add_f64 v[106:107], v[195:196], -v[193:194]
	v_add_f64 v[88:89], v[98:99], v[88:89]
	v_add_f64 v[78:79], v[90:91], v[78:79]
	v_fma_f64 v[90:91], v[138:139], s[4:5], v[92:93]
	v_fma_f64 v[92:93], v[96:97], s[4:5], v[108:109]
	;; [unrolled: 1-line block ×4, first 2 shown]
	v_add_f64 v[130:131], v[104:105], v[102:103]
	v_add_f64 v[114:115], v[122:123], v[112:113]
	v_add_f64 v[102:103], v[104:105], -v[102:103]
	v_add_f64 v[104:105], v[94:95], v[124:125]
	v_add_f64 v[108:109], v[122:123], -v[112:113]
	v_add_f64 v[94:95], v[94:95], -v[124:125]
	v_add_f64 v[112:113], v[88:89], v[78:79]
	v_add_f64 v[122:123], v[92:93], v[90:91]
	ds_write2_b64 v200, v[106:107], v[110:111] offset0:104 offset1:194
	v_add_f64 v[106:107], v[62:63], v[44:45]
	v_add_f64 v[78:79], v[88:89], -v[78:79]
	v_add_f64 v[88:89], v[96:97], v[98:99]
	ds_write2_b64 v201, v[130:131], v[114:115] offset1:90
	ds_write2_b64 v202, v[104:105], v[102:103] offset0:52 offset1:142
	ds_write2_b64 v203, v[108:109], v[94:95] offset0:104 offset1:194
	v_add_f64 v[94:95], v[84:85], v[42:43]
	v_add_f64 v[62:63], v[128:129], v[62:63]
	v_add_f64 v[60:61], v[60:61], -v[74:75]
	v_add_f64 v[74:75], v[76:77], v[86:87]
	ds_write2_b64 v204, v[112:113], v[122:123] offset1:90
	ds_write2_b64 v205, v[88:89], v[78:79] offset0:52 offset1:142
	v_fma_f64 v[78:79], v[106:107], -0.5, v[128:129]
	v_mul_f64 v[76:77], v[145:146], 0.5
	v_add_f64 v[86:87], v[92:93], -v[90:91]
	v_mul_f64 v[90:91], v[120:121], -0.5
	v_add_f64 v[84:85], v[40:41], v[84:85]
	v_fma_f64 v[40:41], v[94:95], -0.5, v[40:41]
	v_add_f64 v[44:45], v[62:63], v[44:45]
	v_add_f64 v[74:75], v[74:75], v[118:119]
	v_add_f64 v[72:73], v[72:73], -v[82:83]
	v_add_f64 v[46:47], v[46:47], v[80:81]
	v_mul_f64 v[80:81], v[157:158], 0.5
	v_mul_f64 v[82:83], v[161:162], -0.5
	v_fma_f64 v[62:63], v[60:61], s[4:5], v[78:79]
	v_fma_f64 v[76:77], v[151:152], s[4:5], v[76:77]
	;; [unrolled: 1-line block ×4, first 2 shown]
	v_add_f64 v[90:91], v[44:45], v[74:75]
	v_add_f64 v[44:45], v[44:45], -v[74:75]
	v_add_f64 v[42:43], v[84:85], v[42:43]
	v_fma_f64 v[74:75], v[72:73], s[4:5], v[40:41]
	v_add_f64 v[46:47], v[46:47], v[116:117]
	v_fma_f64 v[40:41], v[72:73], s[2:3], v[40:41]
	v_fma_f64 v[72:73], v[159:160], s[4:5], v[80:81]
	;; [unrolled: 1-line block ×3, first 2 shown]
	v_add_f64 v[88:89], v[96:97], -v[98:99]
	v_add_f64 v[82:83], v[62:63], v[76:77]
	v_add_f64 v[62:63], v[62:63], -v[76:77]
	v_add_f64 v[76:77], v[60:61], v[78:79]
	;; [unrolled: 2-line block ×5, first 2 shown]
	v_add_f64 v[40:41], v[40:41], -v[80:81]
	ds_write2_b64 v206, v[86:87], v[88:89] offset0:104 offset1:194
	ds_write2_b64 v207, v[90:91], v[82:83] offset1:90
	ds_write2_b64 v208, v[76:77], v[44:45] offset0:52 offset1:142
	ds_write2_b64 v209, v[62:63], v[60:61] offset0:104 offset1:194
	ds_write2_b64 v100, v[78:79], v[46:47] offset1:90
	ds_write2_b64 v210, v[74:75], v[42:43] offset0:52 offset1:142
	ds_write2_b64 v211, v[72:73], v[40:41] offset0:104 offset1:194
	s_waitcnt lgkmcnt(0)
	s_barrier
	s_and_saveexec_b64 s[14:15], s[0:1]
	s_cbranch_execz .LBB0_15
; %bb.14:
	v_mul_u32_u24_e32 v40, 5, v184
	v_lshlrev_b32_e32 v40, 4, v40
	v_mov_b32_e32 v104, s13
	v_add_co_u32_e32 v40, vcc, s12, v40
	v_addc_co_u32_e32 v41, vcc, 0, v104, vcc
	v_add_co_u32_e32 v72, vcc, 0x2190, v40
	v_addc_co_u32_e32 v73, vcc, 0, v41, vcc
	;; [unrolled: 2-line block ×3, first 2 shown]
	global_load_dwordx4 v[40:43], v[74:75], off offset:400
	global_load_dwordx4 v[44:47], v[72:73], off offset:48
	;; [unrolled: 1-line block ×5, first 2 shown]
	v_mov_b32_e32 v72, 0xfffffde4
	v_mad_u32_u24 v100, v184, 5, v72
	v_lshlrev_b64 v[72:73], 4, v[100:101]
	s_movk_i32 s0, 0x2190
	v_add_co_u32_e32 v74, vcc, s12, v72
	v_addc_co_u32_e32 v75, vcc, v104, v73, vcc
	v_add_co_u32_e32 v72, vcc, s0, v74
	v_addc_co_u32_e32 v73, vcc, 0, v75, vcc
	;; [unrolled: 2-line block ×3, first 2 shown]
	global_load_dwordx4 v[92:95], v[72:73], off offset:16
	global_load_dwordx4 v[96:99], v[72:73], off offset:32
	;; [unrolled: 1-line block ×5, first 2 shown]
	v_mov_b32_e32 v100, 0xfffffbc8
	v_mad_u32_u24 v100, v184, 5, v100
	v_lshlrev_b64 v[137:138], 4, v[100:101]
	v_mul_lo_u32 v139, s7, v166
	v_add_co_u32_e32 v100, vcc, s12, v137
	v_addc_co_u32_e32 v137, vcc, v104, v138, vcc
	v_mul_lo_u32 v140, s6, v167
	v_mad_u64_u32 v[102:103], s[6:7], s6, v166, 0
	v_add_co_u32_e32 v149, vcc, s0, v100
	v_addc_co_u32_e32 v150, vcc, 0, v137, vcc
	v_add_co_u32_e32 v153, vcc, s9, v100
	v_addc_co_u32_e32 v154, vcc, 0, v137, vcc
	ds_read2_b64 v[72:75], v178 offset0:48 offset1:156
	ds_read2_b64 v[80:83], v179 offset0:104 offset1:212
	;; [unrolled: 1-line block ×8, first 2 shown]
	v_add3_u32 v103, v103, v140, v139
	global_load_dwordx4 v[137:140], v[153:154], off offset:400
	global_load_dwordx4 v[141:144], v[149:150], off offset:48
	;; [unrolled: 1-line block ×3, first 2 shown]
	s_nop 0
	global_load_dwordx4 v[149:152], v[149:150], off offset:16
	s_nop 0
	global_load_dwordx4 v[153:156], v[153:154], off offset:464
	s_movk_i32 s1, 0x6000
	s_waitcnt vmcnt(14) lgkmcnt(4)
	v_mul_f64 v[166:167], v[42:43], v[119:120]
	v_mul_f64 v[42:43], v[50:51], v[42:43]
	s_waitcnt vmcnt(12) lgkmcnt(3)
	v_mul_f64 v[159:160], v[62:63], v[123:124]
	v_mul_f64 v[62:63], v[54:55], v[62:63]
	s_waitcnt vmcnt(10)
	v_mul_f64 v[176:177], v[58:59], v[90:91]
	s_waitcnt lgkmcnt(2)
	v_mul_f64 v[90:91], v[90:91], v[127:128]
	v_mul_f64 v[157:158], v[16:17], v[86:87]
	;; [unrolled: 1-line block ×5, first 2 shown]
	v_fma_f64 v[54:55], v[54:55], v[60:61], v[159:160]
	v_fma_f64 v[62:63], v[60:61], v[123:124], -v[62:63]
	v_fma_f64 v[123:124], v[88:89], v[127:128], -v[176:177]
	v_fma_f64 v[58:59], v[58:59], v[88:89], v[90:91]
	v_fma_f64 v[42:43], v[40:41], v[119:120], -v[42:43]
	v_fma_f64 v[80:81], v[84:85], v[80:81], -v[157:158]
	v_fma_f64 v[16:17], v[16:17], v[84:85], v[86:87]
	v_fma_f64 v[76:77], v[44:45], v[76:77], -v[161:162]
	s_waitcnt vmcnt(8)
	v_mul_f64 v[180:181], v[98:99], v[121:122]
	s_waitcnt vmcnt(7)
	v_mul_f64 v[182:183], v[107:108], v[125:126]
	v_add_f64 v[60:61], v[62:63], v[123:124]
	v_mul_f64 v[98:99], v[52:53], v[98:99]
	v_mul_f64 v[107:108], v[56:57], v[107:108]
	v_fma_f64 v[20:21], v[20:21], v[44:45], v[46:47]
	v_fma_f64 v[84:85], v[50:51], v[40:41], v[166:167]
	v_add_f64 v[46:47], v[54:55], v[58:59]
	v_add_f64 v[50:51], v[54:55], -v[58:59]
	v_mul_f64 v[178:179], v[66:67], v[94:95]
	v_fma_f64 v[60:61], v[60:61], -0.5, v[42:43]
	s_waitcnt vmcnt(6)
	v_mul_f64 v[127:128], v[48:49], v[111:112]
	v_add_f64 v[40:41], v[72:73], v[80:81]
	v_add_f64 v[44:45], v[12:13], v[16:17]
	;; [unrolled: 1-line block ×3, first 2 shown]
	v_add_f64 v[88:89], v[16:17], -v[20:21]
	v_add_f64 v[90:91], v[62:63], -v[123:124]
	v_add_f64 v[42:43], v[42:43], v[62:63]
	v_add_f64 v[16:17], v[16:17], v[20:21]
	v_fma_f64 v[46:47], v[46:47], -0.5, v[84:85]
	v_add_f64 v[62:63], v[80:81], -v[76:77]
	v_fma_f64 v[80:81], v[50:51], s[2:3], v[60:61]
	v_fma_f64 v[50:51], v[50:51], s[4:5], v[60:61]
	v_fma_f64 v[119:120], v[96:97], v[121:122], -v[98:99]
	v_fma_f64 v[107:108], v[105:106], v[125:126], -v[107:108]
	s_waitcnt vmcnt(5)
	v_mul_f64 v[98:99], v[70:71], v[115:116]
	v_add_f64 v[60:61], v[40:41], v[76:77]
	v_fma_f64 v[40:41], v[86:87], -0.5, v[72:73]
	v_add_f64 v[72:73], v[42:43], v[123:124]
	v_fma_f64 v[12:13], v[16:17], -0.5, v[12:13]
	v_fma_f64 v[16:17], v[90:91], s[4:5], v[46:47]
	v_fma_f64 v[42:43], v[90:91], s[2:3], v[46:47]
	v_mul_f64 v[46:47], v[80:81], -0.5
	v_mul_f64 v[76:77], v[50:51], 0.5
	v_mul_f64 v[111:112], v[111:112], v[117:118]
	v_fma_f64 v[157:158], v[52:53], v[96:97], v[180:181]
	v_fma_f64 v[159:160], v[56:57], v[105:106], v[182:183]
	v_fma_f64 v[105:106], v[109:110], v[117:118], -v[127:128]
	v_add_f64 v[52:53], v[119:120], v[107:108]
	v_add_f64 v[54:55], v[84:85], v[54:55]
	s_waitcnt lgkmcnt(1)
	v_fma_f64 v[84:85], v[92:93], v[131:132], -v[178:179]
	s_waitcnt lgkmcnt(0)
	v_fma_f64 v[117:118], v[113:114], v[135:136], -v[98:99]
	v_mul_f64 v[56:57], v[131:132], v[94:95]
	v_mul_f64 v[94:95], v[135:136], v[115:116]
	;; [unrolled: 1-line block ×4, first 2 shown]
	v_fma_f64 v[86:87], v[88:89], s[2:3], v[40:41]
	v_fma_f64 v[88:89], v[88:89], s[4:5], v[40:41]
	;; [unrolled: 1-line block ×7, first 2 shown]
	v_add_f64 v[48:49], v[157:158], v[159:160]
	v_fma_f64 v[52:53], v[52:53], -0.5, v[105:106]
	v_add_f64 v[109:110], v[157:158], -v[159:160]
	v_add_f64 v[115:116], v[84:85], v[117:118]
	v_fma_f64 v[92:93], v[66:67], v[92:93], v[56:57]
	v_fma_f64 v[94:95], v[70:71], v[113:114], v[94:95]
	ds_read2_b64 v[96:99], v175 offset0:88 offset1:196
	v_fma_f64 v[16:17], v[16:17], -0.5, v[80:81]
	v_fma_f64 v[80:81], v[42:43], 0.5, v[50:51]
	v_add_f64 v[42:43], v[86:87], -v[62:63]
	v_add_f64 v[46:47], v[88:89], -v[76:77]
	v_add_f64 v[111:112], v[54:55], v[58:59]
	v_fma_f64 v[56:57], v[48:49], -0.5, v[131:132]
	v_add_f64 v[66:67], v[119:120], -v[107:108]
	v_fma_f64 v[70:71], v[109:110], s[2:3], v[52:53]
	v_fma_f64 v[109:110], v[109:110], s[4:5], v[52:53]
	v_add_f64 v[54:55], v[86:87], v[62:63]
	v_add_f64 v[58:59], v[88:89], v[76:77]
	s_waitcnt lgkmcnt(0)
	v_fma_f64 v[76:77], v[115:116], -0.5, v[98:99]
	v_add_f64 v[86:87], v[92:93], -v[94:95]
	v_add_f64 v[40:41], v[90:91], -v[16:17]
	v_add_f64 v[52:53], v[90:91], v[16:17]
	v_add_f64 v[16:17], v[92:93], v[94:95]
	;; [unrolled: 1-line block ×4, first 2 shown]
	v_add_f64 v[44:45], v[12:13], -v[80:81]
	v_fma_f64 v[88:89], v[66:67], s[4:5], v[56:57]
	v_mul_f64 v[113:114], v[70:71], -0.5
	v_fma_f64 v[115:116], v[66:67], s[2:3], v[56:57]
	v_mul_f64 v[66:67], v[109:110], 0.5
	v_add_f64 v[56:57], v[12:13], v[80:81]
	v_fma_f64 v[12:13], v[86:87], s[2:3], v[76:77]
	v_fma_f64 v[76:77], v[86:87], s[4:5], v[76:77]
	v_add_f64 v[86:87], v[98:99], v[84:85]
	v_mul_f64 v[98:99], v[109:110], s[2:3]
	v_fma_f64 v[16:17], v[16:17], -0.5, v[38:39]
	v_add_f64 v[84:85], v[84:85], -v[117:118]
	v_add_f64 v[50:51], v[60:61], -v[72:73]
	;; [unrolled: 1-line block ×3, first 2 shown]
	v_add_f64 v[62:63], v[60:61], v[72:73]
	v_add_f64 v[60:61], v[20:21], v[111:112]
	v_mul_f64 v[20:21], v[70:71], s[2:3]
	v_add_f64 v[161:162], v[90:91], v[107:108]
	ds_read2_b64 v[105:108], v174 offset0:64 offset1:172
	v_fma_f64 v[72:73], v[88:89], s[4:5], v[113:114]
	v_fma_f64 v[80:81], v[115:116], s[4:5], v[66:67]
	v_fma_f64 v[174:175], v[115:116], 0.5, v[98:99]
	ds_read2_b64 v[113:116], v172 offset0:120 offset1:228
	v_add_f64 v[135:136], v[86:87], v[117:118]
	v_fma_f64 v[166:167], v[84:85], s[4:5], v[16:17]
	v_fma_f64 v[16:17], v[84:85], s[2:3], v[16:17]
	s_waitcnt vmcnt(2) lgkmcnt(1)
	v_mul_f64 v[84:85], v[147:148], v[107:108]
	v_mov_b32_e32 v86, 0xfffff9ac
	v_fma_f64 v[20:21], v[88:89], -0.5, v[20:21]
	v_mad_u32_u24 v100, v184, 5, v86
	s_waitcnt vmcnt(0) lgkmcnt(0)
	v_mul_f64 v[88:89], v[155:156], v[115:116]
	v_mul_f64 v[90:91], v[30:31], v[147:148]
	v_mul_f64 v[98:99], v[34:35], v[155:156]
	v_mul_f64 v[121:122], v[26:27], v[139:140]
	v_lshlrev_b64 v[86:87], 4, v[100:101]
	ds_read2_b64 v[109:112], v173 offset0:136 offset1:244
	v_add_co_u32_e32 v100, vcc, s12, v86
	v_addc_co_u32_e32 v123, vcc, v104, v87, vcc
	v_add_co_u32_e32 v86, vcc, s0, v100
	v_addc_co_u32_e32 v87, vcc, 0, v123, vcc
	v_fma_f64 v[30:31], v[30:31], v[145:146], v[84:85]
	v_add_co_u32_e32 v84, vcc, s9, v100
	global_load_dwordx4 v[117:120], v[86:87], off offset:16
	s_waitcnt lgkmcnt(0)
	v_mul_f64 v[139:140], v[139:140], v[111:112]
	v_fma_f64 v[34:35], v[34:35], v[153:154], v[88:89]
	v_fma_f64 v[107:108], v[145:146], v[107:108], -v[90:91]
	v_fma_f64 v[115:116], v[153:154], v[115:116], -v[98:99]
	;; [unrolled: 1-line block ×3, first 2 shown]
	v_addc_co_u32_e32 v85, vcc, 0, v123, vcc
	global_load_dwordx4 v[121:124], v[86:87], off offset:48
	global_load_dwordx4 v[125:128], v[86:87], off offset:32
	;; [unrolled: 1-line block ×4, first 2 shown]
	v_mul_f64 v[172:173], v[64:65], v[151:152]
	v_mul_f64 v[176:177], v[68:69], v[143:144]
	v_add_f64 v[38:39], v[38:39], v[92:93]
	v_add_f64 v[84:85], v[107:108], v[115:116]
	v_fma_f64 v[178:179], v[26:27], v[137:138], v[139:140]
	v_add_f64 v[26:27], v[30:31], v[34:35]
	v_add_f64 v[92:93], v[30:31], -v[34:35]
	v_mul_f64 v[86:87], v[129:130], v[151:152]
	v_fma_f64 v[172:173], v[149:150], v[129:130], -v[172:173]
	v_fma_f64 v[176:177], v[141:142], v[133:134], -v[176:177]
	v_mul_f64 v[88:89], v[133:134], v[143:144]
	v_fma_f64 v[90:91], v[84:85], -0.5, v[111:112]
	v_add_f64 v[84:85], v[131:132], v[157:158]
	v_fma_f64 v[26:27], v[26:27], -0.5, v[178:179]
	v_add_f64 v[129:130], v[107:108], -v[115:116]
	v_add_f64 v[38:39], v[38:39], v[94:95]
	v_fma_f64 v[137:138], v[64:65], v[149:150], v[86:87]
	v_add_f64 v[94:95], v[172:173], v[176:177]
	v_fma_f64 v[180:181], v[68:69], v[141:142], v[88:89]
	v_fma_f64 v[131:132], v[92:93], s[2:3], v[90:91]
	v_add_f64 v[70:71], v[76:77], -v[80:81]
	v_add_f64 v[133:134], v[84:85], v[159:160]
	v_fma_f64 v[143:144], v[129:130], s[4:5], v[26:27]
	v_fma_f64 v[151:152], v[92:93], s[4:5], v[90:91]
	v_mul_u32_u24_e32 v100, 5, v168
	v_fma_f64 v[139:140], v[94:95], -0.5, v[96:97]
	v_add_f64 v[141:142], v[137:138], -v[180:181]
	v_mul_f64 v[149:150], v[131:132], -0.5
	v_add_f64 v[94:95], v[76:77], v[80:81]
	v_add_f64 v[80:81], v[111:112], v[107:108]
	v_lshlrev_b32_e32 v100, 4, v100
	v_add_co_u32_e32 v100, vcc, s12, v100
	v_addc_co_u32_e32 v104, vcc, 0, v104, vcc
	v_add_co_u32_e32 v157, vcc, s0, v100
	v_addc_co_u32_e32 v158, vcc, 0, v104, vcc
	v_add_f64 v[64:65], v[166:167], -v[20:21]
	v_add_f64 v[88:89], v[166:167], v[20:21]
	v_fma_f64 v[20:21], v[143:144], s[4:5], v[149:150]
	v_add_co_u32_e32 v149, vcc, s9, v100
	v_addc_co_u32_e32 v150, vcc, 0, v104, vcc
	v_add_f64 v[66:67], v[12:13], -v[72:73]
	v_add_f64 v[86:87], v[135:136], -v[161:162]
	;; [unrolled: 1-line block ×4, first 2 shown]
	v_add_f64 v[90:91], v[12:13], v[72:73]
	v_add_f64 v[98:99], v[135:136], v[161:162]
	v_fma_f64 v[12:13], v[141:142], s[2:3], v[139:140]
	v_fma_f64 v[26:27], v[129:130], s[2:3], v[26:27]
	v_add_f64 v[76:77], v[96:97], v[172:173]
	v_add_f64 v[92:93], v[16:17], v[174:175]
	;; [unrolled: 1-line block ×3, first 2 shown]
	v_fma_f64 v[16:17], v[141:142], s[4:5], v[139:140]
	v_add_f64 v[80:81], v[80:81], v[115:116]
	v_mul_f64 v[115:116], v[131:132], s[2:3]
	v_mul_f64 v[141:142], v[151:152], s[2:3]
	global_load_dwordx4 v[129:132], v[157:158], off offset:32
	global_load_dwordx4 v[133:136], v[149:150], off offset:464
	v_mul_f64 v[72:73], v[151:152], 0.5
	v_add_f64 v[107:108], v[137:138], v[180:181]
	v_add_f64 v[111:112], v[172:173], -v[176:177]
	v_add_f64 v[76:77], v[76:77], v[176:177]
	v_fma_f64 v[115:116], v[143:144], -0.5, v[115:116]
	v_fma_f64 v[166:167], v[26:27], 0.5, v[141:142]
	global_load_dwordx4 v[141:144], v[149:150], off offset:400
	s_nop 0
	global_load_dwordx4 v[149:152], v[157:158], off offset:16
	s_nop 0
	global_load_dwordx4 v[157:160], v[157:158], off offset:48
	v_add_f64 v[30:31], v[178:179], v[30:31]
	v_fma_f64 v[107:108], v[107:108], -0.5, v[36:37]
	ds_read2_b64 v[171:174], v171 offset0:56 offset1:164
	v_fma_f64 v[72:73], v[26:27], s[4:5], v[72:73]
	v_add_f64 v[38:39], v[12:13], -v[20:21]
	s_waitcnt vmcnt(8)
	v_mul_f64 v[184:185], v[10:11], v[123:124]
	s_waitcnt vmcnt(7)
	v_mul_f64 v[175:176], v[28:29], v[127:128]
	v_mul_f64 v[127:128], v[127:128], v[105:106]
	s_waitcnt vmcnt(5)
	v_mul_f64 v[182:183], v[32:33], v[155:156]
	v_fma_f64 v[161:162], v[111:112], s[4:5], v[107:108]
	v_fma_f64 v[111:112], v[111:112], s[2:3], v[107:108]
	v_add_f64 v[107:108], v[36:37], v[137:138]
	v_mul_f64 v[155:156], v[155:156], v[113:114]
	v_mul_f64 v[177:178], v[24:25], v[147:148]
	v_fma_f64 v[175:176], v[125:126], v[105:106], -v[175:176]
	v_mul_f64 v[147:148], v[147:148], v[109:110]
	v_fma_f64 v[113:114], v[153:154], v[113:114], -v[182:183]
	v_mul_f64 v[182:183], v[6:7], v[119:120]
	v_fma_f64 v[125:126], v[28:29], v[125:126], v[127:128]
	v_add_f64 v[180:181], v[107:108], v[180:181]
	ds_read2_b64 v[104:107], v170 offset0:112 offset1:220
	v_fma_f64 v[127:128], v[32:33], v[153:154], v[155:156]
	v_fma_f64 v[153:154], v[145:146], v[109:110], -v[177:178]
	s_waitcnt lgkmcnt(1)
	v_mul_f64 v[32:33], v[173:174], v[119:120]
	v_add_f64 v[28:29], v[175:176], v[113:114]
	v_fma_f64 v[155:156], v[117:118], v[173:174], -v[182:183]
	s_waitcnt lgkmcnt(0)
	v_fma_f64 v[177:178], v[121:122], v[106:107], -v[184:185]
	v_mul_f64 v[106:107], v[106:107], v[123:124]
	v_fma_f64 v[119:120], v[24:25], v[145:146], v[147:148]
	v_add_f64 v[108:109], v[125:126], v[127:128]
	v_add_f64 v[145:146], v[125:126], -v[127:128]
	v_add_f64 v[34:35], v[30:31], v[34:35]
	v_fma_f64 v[123:124], v[28:29], -0.5, v[153:154]
	ds_read2_b64 v[28:31], v169 offset1:108
	v_add_f64 v[147:148], v[155:156], v[177:178]
	v_add_f64 v[139:140], v[16:17], -v[72:73]
	v_fma_f64 v[117:118], v[6:7], v[117:118], v[32:33]
	v_fma_f64 v[121:122], v[10:11], v[121:122], v[106:107]
	v_fma_f64 v[6:7], v[108:109], -0.5, v[119:120]
	v_add_f64 v[10:11], v[175:176], -v[113:114]
	v_fma_f64 v[106:107], v[145:146], s[2:3], v[123:124]
	v_add_f64 v[32:33], v[16:17], v[72:73]
	s_waitcnt lgkmcnt(0)
	v_fma_f64 v[16:17], v[147:148], -0.5, v[30:31]
	v_add_f64 v[30:31], v[30:31], v[155:156]
	v_add_f64 v[26:27], v[76:77], -v[80:81]
	v_add_f64 v[36:37], v[161:162], -v[115:116]
	;; [unrolled: 1-line block ×3, first 2 shown]
	v_add_f64 v[12:13], v[12:13], v[20:21]
	v_fma_f64 v[20:21], v[145:146], s[4:5], v[123:124]
	v_add_f64 v[108:109], v[76:77], v[80:81]
	v_fma_f64 v[76:77], v[10:11], s[4:5], v[6:7]
	v_mul_f64 v[80:81], v[106:107], -0.5
	v_fma_f64 v[123:124], v[10:11], s[2:3], v[6:7]
	v_add_f64 v[10:11], v[161:162], v[115:116]
	v_add_f64 v[161:162], v[30:31], v[177:178]
	v_add_f64 v[30:31], v[111:112], v[166:167]
	v_mul_f64 v[110:111], v[106:107], s[2:3]
	v_add_f64 v[24:25], v[180:181], -v[34:35]
	v_mul_f64 v[6:7], v[20:21], 0.5
	v_add_f64 v[145:146], v[153:154], v[175:176]
	v_add_f64 v[147:148], v[117:118], v[121:122]
	v_fma_f64 v[80:81], v[76:77], s[4:5], v[80:81]
	v_add_f64 v[106:107], v[180:181], v[34:35]
	v_mul_f64 v[34:35], v[20:21], s[2:3]
	v_fma_f64 v[76:77], v[76:77], -0.5, v[110:111]
	v_add_f64 v[72:73], v[117:118], -v[121:122]
	v_fma_f64 v[153:154], v[123:124], s[4:5], v[6:7]
	v_add_f64 v[113:114], v[145:146], v[113:114]
	v_fma_f64 v[145:146], v[147:148], -0.5, v[2:3]
	v_add_f64 v[2:3], v[2:3], v[117:118]
	s_waitcnt vmcnt(4)
	v_mul_f64 v[166:167], v[18:19], v[131:132]
	s_waitcnt vmcnt(3)
	v_mul_f64 v[110:111], v[22:23], v[135:136]
	v_fma_f64 v[34:35], v[123:124], 0.5, v[34:35]
	v_mul_f64 v[117:118], v[131:132], v[82:83]
	v_mul_f64 v[123:124], v[135:136], v[78:79]
	v_add_f64 v[119:120], v[119:120], v[125:126]
	v_add_f64 v[147:148], v[155:156], -v[177:178]
	v_add_f64 v[121:122], v[2:3], v[121:122]
	v_fma_f64 v[82:83], v[129:130], v[82:83], -v[166:167]
	s_waitcnt vmcnt(2)
	v_mul_f64 v[131:132], v[14:15], v[143:144]
	v_fma_f64 v[110:111], v[133:134], v[78:79], -v[110:111]
	s_waitcnt vmcnt(1)
	v_mul_f64 v[78:79], v[4:5], v[151:152]
	s_waitcnt vmcnt(0)
	v_mul_f64 v[135:136], v[8:9], v[159:160]
	v_mul_f64 v[125:126], v[143:144], v[74:75]
	v_fma_f64 v[117:118], v[18:19], v[129:130], v[117:118]
	v_fma_f64 v[22:23], v[22:23], v[133:134], v[123:124]
	;; [unrolled: 1-line block ×3, first 2 shown]
	v_fma_f64 v[123:124], v[141:142], v[74:75], -v[131:132]
	v_add_f64 v[18:19], v[82:83], v[110:111]
	v_fma_f64 v[129:130], v[149:150], v[171:172], -v[78:79]
	v_fma_f64 v[131:132], v[157:158], v[104:105], -v[135:136]
	v_mul_f64 v[74:75], v[171:172], v[151:152]
	v_mul_f64 v[78:79], v[104:105], v[159:160]
	v_fma_f64 v[104:105], v[14:15], v[141:142], v[125:126]
	v_add_f64 v[14:15], v[117:118], v[22:23]
	v_add_f64 v[125:126], v[117:118], -v[22:23]
	v_fma_f64 v[2:3], v[18:19], -0.5, v[123:124]
	v_add_f64 v[119:120], v[119:120], v[127:128]
	v_add_f64 v[127:128], v[129:130], v[131:132]
	v_fma_f64 v[133:134], v[4:5], v[149:150], v[74:75]
	v_fma_f64 v[8:9], v[8:9], v[157:158], v[78:79]
	v_add_f64 v[141:142], v[82:83], -v[110:111]
	v_fma_f64 v[135:136], v[14:15], -0.5, v[104:105]
	v_fma_f64 v[72:73], v[72:73], s[4:5], v[16:17]
	v_fma_f64 v[143:144], v[125:126], s[2:3], v[2:3]
	;; [unrolled: 1-line block ×3, first 2 shown]
	v_add_f64 v[6:7], v[115:116], -v[80:81]
	v_fma_f64 v[145:146], v[147:148], s[2:3], v[145:146]
	v_add_f64 v[74:75], v[115:116], v[80:81]
	v_fma_f64 v[80:81], v[127:128], -0.5, v[28:29]
	v_add_f64 v[115:116], v[133:134], -v[8:9]
	v_fma_f64 v[127:128], v[141:142], s[4:5], v[135:136]
	v_mul_f64 v[147:148], v[143:144], -0.5
	v_add_f64 v[16:17], v[72:73], -v[153:154]
	v_add_f64 v[4:5], v[155:156], -v[76:77]
	v_fma_f64 v[125:126], v[125:126], s[4:5], v[2:3]
	v_add_f64 v[2:3], v[72:73], v[153:154]
	v_add_f64 v[72:73], v[155:156], v[76:77]
	;; [unrolled: 1-line block ×3, first 2 shown]
	v_add_f64 v[20:21], v[161:162], -v[113:114]
	v_add_f64 v[78:79], v[161:162], v[113:114]
	v_fma_f64 v[149:150], v[115:116], s[2:3], v[80:81]
	v_fma_f64 v[112:113], v[141:142], s[2:3], v[135:136]
	;; [unrolled: 1-line block ×4, first 2 shown]
	v_add_f64 v[28:29], v[28:29], v[129:130]
	v_add_f64 v[80:81], v[123:124], v[82:83]
	v_mul_f64 v[135:136], v[125:126], 0.5
	v_fma_f64 v[76:77], v[76:77], -0.5, v[0:1]
	v_add_f64 v[82:83], v[129:130], -v[131:132]
	v_mul_f64 v[114:115], v[143:144], s[2:3]
	v_mul_f64 v[125:126], v[125:126], s[2:3]
	v_add_f64 v[0:1], v[0:1], v[133:134]
	v_add_f64 v[104:105], v[104:105], v[117:118]
	;; [unrolled: 1-line block ×4, first 2 shown]
	v_fma_f64 v[123:124], v[112:113], s[4:5], v[135:136]
	v_fma_f64 v[135:136], v[82:83], s[2:3], v[76:77]
	v_fma_f64 v[133:134], v[127:128], -0.5, v[114:115]
	v_fma_f64 v[126:127], v[112:113], 0.5, v[125:126]
	v_add_f64 v[8:9], v[0:1], v[8:9]
	v_add_f64 v[22:23], v[104:105], v[22:23]
	s_mov_b32 s0, 0xf2b9d649
	v_add_f64 v[116:117], v[28:29], -v[129:130]
	v_add_f64 v[128:129], v[28:29], v[129:130]
	v_mul_hi_u32 v28, v168, s0
	v_fma_f64 v[131:132], v[82:83], s[4:5], v[76:77]
	v_add_f64 v[18:19], v[121:122], -v[119:120]
	v_add_f64 v[76:77], v[121:122], v[119:120]
	v_add_f64 v[112:113], v[147:148], -v[123:124]
	v_add_f64 v[110:111], v[135:136], -v[126:127]
	;; [unrolled: 1-line block ×3, first 2 shown]
	v_add_f64 v[124:125], v[147:148], v[123:124]
	v_add_f64 v[122:123], v[135:136], v[126:127]
	;; [unrolled: 1-line block ×3, first 2 shown]
	v_lshrrev_b32_e32 v8, 9, v28
	v_mul_u32_u24_e32 v8, 0x21c, v8
	v_sub_u32_e32 v22, v168, v8
	v_lshlrev_b64 v[8:9], 4, v[102:103]
	v_mov_b32_e32 v23, s11
	v_add_co_u32_e32 v28, vcc, s10, v8
	v_addc_co_u32_e32 v23, vcc, v23, v9, vcc
	v_lshlrev_b64 v[8:9], 4, v[164:165]
	v_add_f64 v[120:121], v[149:150], v[141:142]
	v_add_f64 v[118:119], v[131:132], v[133:134]
	v_add_co_u32_e32 v28, vcc, v28, v8
	v_addc_co_u32_e32 v29, vcc, v23, v9, vcc
	v_lshlrev_b32_e32 v8, 4, v22
	v_add_co_u32_e32 v8, vcc, v28, v8
	v_addc_co_u32_e32 v9, vcc, 0, v29, vcc
	v_add_co_u32_e32 v22, vcc, s9, v8
	v_addc_co_u32_e32 v23, vcc, 0, v9, vcc
	global_store_dwordx4 v[22:23], v[122:125], off offset:448
	v_add_co_u32_e32 v22, vcc, s8, v8
	v_addc_co_u32_e32 v23, vcc, 0, v9, vcc
	global_store_dwordx4 v[22:23], v[118:121], off offset:896
	v_add_co_u32_e32 v22, vcc, s1, v8
	v_add_f64 v[82:83], v[149:150], -v[141:142]
	v_add_f64 v[80:81], v[131:132], -v[133:134]
	v_addc_co_u32_e32 v23, vcc, 0, v9, vcc
	s_mov_b32 s1, 0x8000
	global_store_dwordx4 v[22:23], v[114:117], off offset:1344
	v_add_co_u32_e32 v22, vcc, s1, v8
	v_addc_co_u32_e32 v23, vcc, 0, v9, vcc
	global_store_dwordx4 v[22:23], v[110:113], off offset:1792
	v_add_u32_e32 v22, 0x6c, v168
	v_mul_hi_u32 v23, v22, s0
	s_mov_b32 s1, 0xa000
	global_store_dwordx4 v[8:9], v[126:129], off
	v_add_co_u32_e32 v8, vcc, s1, v8
	v_addc_co_u32_e32 v9, vcc, 0, v9, vcc
	global_store_dwordx4 v[8:9], v[80:83], off offset:2240
	v_lshrrev_b32_e32 v8, 9, v23
	v_mul_u32_u24_e32 v9, 0x21c, v8
	v_sub_u32_e32 v9, v22, v9
	s_movk_i32 s1, 0xca8
	v_mad_u32_u24 v100, v8, s1, v9
	v_lshlrev_b64 v[8:9], 4, v[100:101]
	v_add_f64 v[0:1], v[145:146], v[34:35]
	v_add_co_u32_e32 v8, vcc, v28, v8
	v_addc_co_u32_e32 v9, vcc, v29, v9, vcc
	global_store_dwordx4 v[8:9], v[76:79], off
	v_add_u32_e32 v8, 0x21c, v100
	v_mov_b32_e32 v9, v101
	v_lshlrev_b64 v[8:9], 4, v[8:9]
	v_add_f64 v[14:15], v[145:146], -v[34:35]
	v_add_co_u32_e32 v8, vcc, v28, v8
	v_addc_co_u32_e32 v9, vcc, v29, v9, vcc
	global_store_dwordx4 v[8:9], v[0:3], off
	s_nop 0
	v_add_u32_e32 v0, 0x438, v100
	v_mov_b32_e32 v1, v101
	v_lshlrev_b64 v[0:1], 4, v[0:1]
	v_add_u32_e32 v2, 0xd8, v168
	v_add_co_u32_e32 v0, vcc, v28, v0
	v_addc_co_u32_e32 v1, vcc, v29, v1, vcc
	global_store_dwordx4 v[0:1], v[72:75], off
	v_add_u32_e32 v0, 0x654, v100
	v_mov_b32_e32 v1, v101
	v_lshlrev_b64 v[0:1], 4, v[0:1]
	v_mul_hi_u32 v3, v2, s0
	v_add_co_u32_e32 v0, vcc, v28, v0
	v_addc_co_u32_e32 v1, vcc, v29, v1, vcc
	global_store_dwordx4 v[0:1], v[18:21], off
	v_add_u32_e32 v0, 0x870, v100
	v_mov_b32_e32 v1, v101
	v_lshlrev_b64 v[0:1], 4, v[0:1]
	v_add_u32_e32 v100, 0xa8c, v100
	v_add_co_u32_e32 v0, vcc, v28, v0
	v_addc_co_u32_e32 v1, vcc, v29, v1, vcc
	global_store_dwordx4 v[0:1], v[14:17], off
	v_lshlrev_b64 v[0:1], 4, v[100:101]
	v_add_co_u32_e32 v0, vcc, v28, v0
	v_addc_co_u32_e32 v1, vcc, v29, v1, vcc
	global_store_dwordx4 v[0:1], v[4:7], off
	v_lshrrev_b32_e32 v0, 9, v3
	v_mul_u32_u24_e32 v1, 0x21c, v0
	v_sub_u32_e32 v1, v2, v1
	v_mad_u32_u24 v100, v0, s1, v1
	v_lshlrev_b64 v[0:1], 4, v[100:101]
	v_add_u32_e32 v2, 0x144, v168
	v_add_co_u32_e32 v0, vcc, v28, v0
	v_addc_co_u32_e32 v1, vcc, v29, v1, vcc
	global_store_dwordx4 v[0:1], v[106:109], off
	v_add_u32_e32 v0, 0x21c, v100
	v_mov_b32_e32 v1, v101
	v_lshlrev_b64 v[0:1], 4, v[0:1]
	v_mul_hi_u32 v3, v2, s0
	v_add_co_u32_e32 v0, vcc, v28, v0
	v_addc_co_u32_e32 v1, vcc, v29, v1, vcc
	global_store_dwordx4 v[0:1], v[30:33], off
	v_add_u32_e32 v0, 0x438, v100
	v_mov_b32_e32 v1, v101
	v_lshlrev_b64 v[0:1], 4, v[0:1]
	v_add_co_u32_e32 v0, vcc, v28, v0
	v_addc_co_u32_e32 v1, vcc, v29, v1, vcc
	global_store_dwordx4 v[0:1], v[10:13], off
	v_add_u32_e32 v0, 0x654, v100
	v_mov_b32_e32 v1, v101
	v_lshlrev_b64 v[0:1], 4, v[0:1]
	;; [unrolled: 6-line block ×3, first 2 shown]
	v_add_u32_e32 v100, 0xa8c, v100
	v_add_co_u32_e32 v0, vcc, v28, v0
	v_addc_co_u32_e32 v1, vcc, v29, v1, vcc
	global_store_dwordx4 v[0:1], v[137:140], off
	v_lshlrev_b64 v[0:1], 4, v[100:101]
	v_add_co_u32_e32 v0, vcc, v28, v0
	v_addc_co_u32_e32 v1, vcc, v29, v1, vcc
	global_store_dwordx4 v[0:1], v[36:39], off
	v_lshrrev_b32_e32 v0, 9, v3
	v_mul_u32_u24_e32 v1, 0x21c, v0
	v_sub_u32_e32 v1, v2, v1
	v_mad_u32_u24 v100, v0, s1, v1
	v_lshlrev_b64 v[0:1], 4, v[100:101]
	v_add_u32_e32 v2, 0x1b0, v168
	v_add_co_u32_e32 v0, vcc, v28, v0
	v_addc_co_u32_e32 v1, vcc, v29, v1, vcc
	global_store_dwordx4 v[0:1], v[96:99], off
	v_add_u32_e32 v0, 0x21c, v100
	v_mov_b32_e32 v1, v101
	v_lshlrev_b64 v[0:1], 4, v[0:1]
	v_mul_hi_u32 v3, v2, s0
	v_add_co_u32_e32 v0, vcc, v28, v0
	v_addc_co_u32_e32 v1, vcc, v29, v1, vcc
	global_store_dwordx4 v[0:1], v[92:95], off
	v_add_u32_e32 v0, 0x438, v100
	v_mov_b32_e32 v1, v101
	v_lshlrev_b64 v[0:1], 4, v[0:1]
	v_add_co_u32_e32 v0, vcc, v28, v0
	v_addc_co_u32_e32 v1, vcc, v29, v1, vcc
	global_store_dwordx4 v[0:1], v[88:91], off
	v_add_u32_e32 v0, 0x654, v100
	v_mov_b32_e32 v1, v101
	v_lshlrev_b64 v[0:1], 4, v[0:1]
	v_add_co_u32_e32 v0, vcc, v28, v0
	v_addc_co_u32_e32 v1, vcc, v29, v1, vcc
	global_store_dwordx4 v[0:1], v[84:87], off
	v_add_u32_e32 v0, 0x870, v100
	v_mov_b32_e32 v1, v101
	v_lshlrev_b64 v[0:1], 4, v[0:1]
	v_add_u32_e32 v100, 0xa8c, v100
	v_add_co_u32_e32 v0, vcc, v28, v0
	v_addc_co_u32_e32 v1, vcc, v29, v1, vcc
	global_store_dwordx4 v[0:1], v[68:71], off
	v_lshlrev_b64 v[0:1], 4, v[100:101]
	v_add_co_u32_e32 v0, vcc, v28, v0
	v_addc_co_u32_e32 v1, vcc, v29, v1, vcc
	global_store_dwordx4 v[0:1], v[64:67], off
	v_lshrrev_b32_e32 v0, 9, v3
	v_mul_u32_u24_e32 v1, 0x21c, v0
	v_sub_u32_e32 v1, v2, v1
	v_mad_u32_u24 v100, v0, s1, v1
	v_lshlrev_b64 v[0:1], 4, v[100:101]
	v_add_co_u32_e32 v0, vcc, v28, v0
	v_addc_co_u32_e32 v1, vcc, v29, v1, vcc
	global_store_dwordx4 v[0:1], v[60:63], off
	v_add_u32_e32 v0, 0x21c, v100
	v_mov_b32_e32 v1, v101
	v_lshlrev_b64 v[0:1], 4, v[0:1]
	v_add_co_u32_e32 v0, vcc, v28, v0
	v_addc_co_u32_e32 v1, vcc, v29, v1, vcc
	global_store_dwordx4 v[0:1], v[56:59], off
	v_add_u32_e32 v0, 0x438, v100
	v_mov_b32_e32 v1, v101
	v_lshlrev_b64 v[0:1], 4, v[0:1]
	v_add_co_u32_e32 v0, vcc, v28, v0
	v_addc_co_u32_e32 v1, vcc, v29, v1, vcc
	global_store_dwordx4 v[0:1], v[52:55], off
	v_add_u32_e32 v0, 0x654, v100
	v_mov_b32_e32 v1, v101
	v_lshlrev_b64 v[0:1], 4, v[0:1]
	v_add_co_u32_e32 v0, vcc, v28, v0
	v_addc_co_u32_e32 v1, vcc, v29, v1, vcc
	global_store_dwordx4 v[0:1], v[48:51], off
	v_add_u32_e32 v0, 0x870, v100
	v_mov_b32_e32 v1, v101
	v_lshlrev_b64 v[0:1], 4, v[0:1]
	v_add_u32_e32 v100, 0xa8c, v100
	v_add_co_u32_e32 v0, vcc, v28, v0
	v_addc_co_u32_e32 v1, vcc, v29, v1, vcc
	global_store_dwordx4 v[0:1], v[44:47], off
	v_lshlrev_b64 v[0:1], 4, v[100:101]
	v_add_co_u32_e32 v0, vcc, v28, v0
	v_addc_co_u32_e32 v1, vcc, v29, v1, vcc
	global_store_dwordx4 v[0:1], v[40:43], off
.LBB0_15:
	s_endpgm
	.section	.rodata,"a",@progbits
	.p2align	6, 0x0
	.amdhsa_kernel fft_rtc_back_len3240_factors_3_3_10_6_6_wgs_108_tpt_108_halfLds_dp_op_CI_CI_unitstride_sbrr_dirReg
		.amdhsa_group_segment_fixed_size 0
		.amdhsa_private_segment_fixed_size 0
		.amdhsa_kernarg_size 104
		.amdhsa_user_sgpr_count 6
		.amdhsa_user_sgpr_private_segment_buffer 1
		.amdhsa_user_sgpr_dispatch_ptr 0
		.amdhsa_user_sgpr_queue_ptr 0
		.amdhsa_user_sgpr_kernarg_segment_ptr 1
		.amdhsa_user_sgpr_dispatch_id 0
		.amdhsa_user_sgpr_flat_scratch_init 0
		.amdhsa_user_sgpr_private_segment_size 0
		.amdhsa_uses_dynamic_stack 0
		.amdhsa_system_sgpr_private_segment_wavefront_offset 0
		.amdhsa_system_sgpr_workgroup_id_x 1
		.amdhsa_system_sgpr_workgroup_id_y 0
		.amdhsa_system_sgpr_workgroup_id_z 0
		.amdhsa_system_sgpr_workgroup_info 0
		.amdhsa_system_vgpr_workitem_id 0
		.amdhsa_next_free_vgpr 221
		.amdhsa_next_free_sgpr 28
		.amdhsa_reserve_vcc 1
		.amdhsa_reserve_flat_scratch 0
		.amdhsa_float_round_mode_32 0
		.amdhsa_float_round_mode_16_64 0
		.amdhsa_float_denorm_mode_32 3
		.amdhsa_float_denorm_mode_16_64 3
		.amdhsa_dx10_clamp 1
		.amdhsa_ieee_mode 1
		.amdhsa_fp16_overflow 0
		.amdhsa_exception_fp_ieee_invalid_op 0
		.amdhsa_exception_fp_denorm_src 0
		.amdhsa_exception_fp_ieee_div_zero 0
		.amdhsa_exception_fp_ieee_overflow 0
		.amdhsa_exception_fp_ieee_underflow 0
		.amdhsa_exception_fp_ieee_inexact 0
		.amdhsa_exception_int_div_zero 0
	.end_amdhsa_kernel
	.text
.Lfunc_end0:
	.size	fft_rtc_back_len3240_factors_3_3_10_6_6_wgs_108_tpt_108_halfLds_dp_op_CI_CI_unitstride_sbrr_dirReg, .Lfunc_end0-fft_rtc_back_len3240_factors_3_3_10_6_6_wgs_108_tpt_108_halfLds_dp_op_CI_CI_unitstride_sbrr_dirReg
                                        ; -- End function
	.section	.AMDGPU.csdata,"",@progbits
; Kernel info:
; codeLenInByte = 20704
; NumSgprs: 32
; NumVgprs: 221
; ScratchSize: 0
; MemoryBound: 1
; FloatMode: 240
; IeeeMode: 1
; LDSByteSize: 0 bytes/workgroup (compile time only)
; SGPRBlocks: 3
; VGPRBlocks: 55
; NumSGPRsForWavesPerEU: 32
; NumVGPRsForWavesPerEU: 221
; Occupancy: 1
; WaveLimiterHint : 1
; COMPUTE_PGM_RSRC2:SCRATCH_EN: 0
; COMPUTE_PGM_RSRC2:USER_SGPR: 6
; COMPUTE_PGM_RSRC2:TRAP_HANDLER: 0
; COMPUTE_PGM_RSRC2:TGID_X_EN: 1
; COMPUTE_PGM_RSRC2:TGID_Y_EN: 0
; COMPUTE_PGM_RSRC2:TGID_Z_EN: 0
; COMPUTE_PGM_RSRC2:TIDIG_COMP_CNT: 0
	.type	__hip_cuid_c54ef9d5e1f3ab9,@object ; @__hip_cuid_c54ef9d5e1f3ab9
	.section	.bss,"aw",@nobits
	.globl	__hip_cuid_c54ef9d5e1f3ab9
__hip_cuid_c54ef9d5e1f3ab9:
	.byte	0                               ; 0x0
	.size	__hip_cuid_c54ef9d5e1f3ab9, 1

	.ident	"AMD clang version 19.0.0git (https://github.com/RadeonOpenCompute/llvm-project roc-6.4.0 25133 c7fe45cf4b819c5991fe208aaa96edf142730f1d)"
	.section	".note.GNU-stack","",@progbits
	.addrsig
	.addrsig_sym __hip_cuid_c54ef9d5e1f3ab9
	.amdgpu_metadata
---
amdhsa.kernels:
  - .args:
      - .actual_access:  read_only
        .address_space:  global
        .offset:         0
        .size:           8
        .value_kind:     global_buffer
      - .offset:         8
        .size:           8
        .value_kind:     by_value
      - .actual_access:  read_only
        .address_space:  global
        .offset:         16
        .size:           8
        .value_kind:     global_buffer
      - .actual_access:  read_only
        .address_space:  global
        .offset:         24
        .size:           8
        .value_kind:     global_buffer
      - .actual_access:  read_only
        .address_space:  global
        .offset:         32
        .size:           8
        .value_kind:     global_buffer
      - .offset:         40
        .size:           8
        .value_kind:     by_value
      - .actual_access:  read_only
        .address_space:  global
        .offset:         48
        .size:           8
        .value_kind:     global_buffer
      - .actual_access:  read_only
        .address_space:  global
        .offset:         56
        .size:           8
        .value_kind:     global_buffer
      - .offset:         64
        .size:           4
        .value_kind:     by_value
      - .actual_access:  read_only
        .address_space:  global
        .offset:         72
        .size:           8
        .value_kind:     global_buffer
      - .actual_access:  read_only
        .address_space:  global
        .offset:         80
        .size:           8
        .value_kind:     global_buffer
      - .actual_access:  read_only
        .address_space:  global
        .offset:         88
        .size:           8
        .value_kind:     global_buffer
      - .actual_access:  write_only
        .address_space:  global
        .offset:         96
        .size:           8
        .value_kind:     global_buffer
    .group_segment_fixed_size: 0
    .kernarg_segment_align: 8
    .kernarg_segment_size: 104
    .language:       OpenCL C
    .language_version:
      - 2
      - 0
    .max_flat_workgroup_size: 108
    .name:           fft_rtc_back_len3240_factors_3_3_10_6_6_wgs_108_tpt_108_halfLds_dp_op_CI_CI_unitstride_sbrr_dirReg
    .private_segment_fixed_size: 0
    .sgpr_count:     32
    .sgpr_spill_count: 0
    .symbol:         fft_rtc_back_len3240_factors_3_3_10_6_6_wgs_108_tpt_108_halfLds_dp_op_CI_CI_unitstride_sbrr_dirReg.kd
    .uniform_work_group_size: 1
    .uses_dynamic_stack: false
    .vgpr_count:     221
    .vgpr_spill_count: 0
    .wavefront_size: 64
amdhsa.target:   amdgcn-amd-amdhsa--gfx906
amdhsa.version:
  - 1
  - 2
...

	.end_amdgpu_metadata
